;; amdgpu-corpus repo=zjin-lcf/HeCBench kind=compiled arch=gfx1201 opt=O3
	.amdgcn_target "amdgcn-amd-amdhsa--gfx1201"
	.amdhsa_code_object_version 6
	.text
	.p2align	2                               ; -- Begin function __ockl_fprintf_append_string_n
	.type	__ockl_fprintf_append_string_n,@function
__ockl_fprintf_append_string_n:         ; @__ockl_fprintf_append_string_n
; %bb.0:
	s_wait_loadcnt_dscnt 0x0
	s_wait_expcnt 0x0
	s_wait_samplecnt 0x0
	s_wait_bvhcnt 0x0
	s_wait_kmcnt 0x0
	v_dual_mov_b32 v8, v3 :: v_dual_mov_b32 v7, v2
	v_or_b32_e32 v2, 2, v0
	v_cmp_eq_u32_e32 vcc_lo, 0, v6
	v_mbcnt_lo_u32_b32 v35, -1, 0
	s_mov_b32 s7, 0
	s_mov_b32 s0, exec_lo
	s_wait_alu 0xfffd
	v_cndmask_b32_e32 v0, v2, v0, vcc_lo
	v_cmpx_ne_u64_e32 0, v[7:8]
	s_wait_alu 0xfffe
	s_xor_b32 s6, exec_lo, s0
	s_cbranch_execz .LBB0_86
; %bb.1:
	s_load_b64 s[2:3], s[8:9], 0x50
	v_dual_mov_b32 v11, 2 :: v_dual_and_b32 v6, 2, v0
	v_mov_b32_e32 v10, 0
	v_and_b32_e32 v0, -3, v0
	v_mov_b32_e32 v12, 1
	s_mov_b32 s10, 0
	s_branch .LBB0_3
.LBB0_2:                                ;   in Loop: Header=BB0_3 Depth=1
	s_wait_alu 0xfffe
	s_or_b32 exec_lo, exec_lo, s11
	v_sub_co_u32 v4, vcc_lo, v4, v29
	s_wait_alu 0xfffd
	v_sub_co_ci_u32_e64 v5, null, v5, v30, vcc_lo
	v_add_co_u32 v7, s0, v7, v29
	s_wait_alu 0xf1ff
	v_add_co_ci_u32_e64 v8, null, v8, v30, s0
	s_delay_alu instid0(VALU_DEP_3)
	v_cmp_eq_u64_e32 vcc_lo, 0, v[4:5]
	s_or_b32 s10, vcc_lo, s10
	s_wait_alu 0xfffe
	s_and_not1_b32 exec_lo, exec_lo, s10
	s_cbranch_execz .LBB0_85
.LBB0_3:                                ; =>This Loop Header: Depth=1
                                        ;     Child Loop BB0_6 Depth 2
                                        ;     Child Loop BB0_14 Depth 2
	;; [unrolled: 1-line block ×11, first 2 shown]
	v_cmp_gt_u64_e32 vcc_lo, 56, v[4:5]
	s_mov_b32 s1, exec_lo
	s_wait_alu 0xfffd
	v_dual_cndmask_b32 v30, 0, v5 :: v_dual_cndmask_b32 v29, 56, v4
	v_add_co_u32 v15, vcc_lo, v7, 8
	s_wait_alu 0xfffd
	v_add_co_ci_u32_e64 v16, null, 0, v8, vcc_lo
	v_cmpx_gt_u64_e32 8, v[4:5]
	s_wait_alu 0xfffe
	s_xor_b32 s1, exec_lo, s1
	s_cbranch_execz .LBB0_9
; %bb.4:                                ;   in Loop: Header=BB0_3 Depth=1
	s_wait_loadcnt 0x0
	v_mov_b32_e32 v2, 0
	v_mov_b32_e32 v3, 0
	s_mov_b32 s11, exec_lo
	v_cmpx_ne_u64_e32 0, v[4:5]
	s_cbranch_execz .LBB0_8
; %bb.5:                                ;   in Loop: Header=BB0_3 Depth=1
	v_lshlrev_b64_e32 v[13:14], 3, v[29:30]
	v_dual_mov_b32 v2, 0 :: v_dual_mov_b32 v15, v8
	v_dual_mov_b32 v3, 0 :: v_dual_mov_b32 v14, v7
	s_mov_b64 s[4:5], 0
	s_mov_b32 s12, 0
.LBB0_6:                                ;   Parent Loop BB0_3 Depth=1
                                        ; =>  This Inner Loop Header: Depth=2
	global_load_u8 v9, v[14:15], off
	v_mov_b32_e32 v17, s7
	v_add_co_u32 v14, vcc_lo, v14, 1
	s_wait_alu 0xfffd
	v_add_co_ci_u32_e64 v15, null, 0, v15, vcc_lo
	s_wait_loadcnt 0x0
	v_and_b32_e32 v16, 0xffff, v9
	s_wait_alu 0xfffe
	s_delay_alu instid0(VALU_DEP_1) | instskip(SKIP_3) | instid1(VALU_DEP_2)
	v_lshlrev_b64_e32 v[16:17], s4, v[16:17]
	s_add_nc_u64 s[4:5], s[4:5], 8
	s_wait_alu 0xfffe
	v_cmp_eq_u32_e64 s0, s4, v13
	v_or_b32_e32 v3, v17, v3
	s_delay_alu instid0(VALU_DEP_3)
	v_or_b32_e32 v2, v16, v2
	s_or_b32 s12, s0, s12
	s_wait_alu 0xfffe
	s_and_not1_b32 exec_lo, exec_lo, s12
	s_cbranch_execnz .LBB0_6
; %bb.7:                                ;   in Loop: Header=BB0_3 Depth=1
	s_or_b32 exec_lo, exec_lo, s12
.LBB0_8:                                ;   in Loop: Header=BB0_3 Depth=1
	s_wait_alu 0xfffe
	s_or_b32 exec_lo, exec_lo, s11
	v_dual_mov_b32 v16, v8 :: v_dual_mov_b32 v15, v7
.LBB0_9:                                ;   in Loop: Header=BB0_3 Depth=1
	s_wait_alu 0xfffe
	s_or_saveexec_b32 s0, s1
	v_mov_b32_e32 v9, 0
	s_wait_alu 0xfffe
	s_xor_b32 exec_lo, exec_lo, s0
	s_cbranch_execz .LBB0_11
; %bb.10:                               ;   in Loop: Header=BB0_3 Depth=1
	s_wait_loadcnt 0x0
	global_load_b64 v[2:3], v[7:8], off
	v_add_nc_u32_e32 v9, -8, v29
.LBB0_11:                               ;   in Loop: Header=BB0_3 Depth=1
	s_or_b32 exec_lo, exec_lo, s0
	v_add_co_u32 v17, s0, v15, 8
	s_wait_alu 0xf1ff
	v_add_co_ci_u32_e64 v18, null, 0, v16, s0
                                        ; implicit-def: $vgpr13_vgpr14
	s_mov_b32 s0, exec_lo
	v_cmpx_gt_u32_e32 8, v9
	s_wait_alu 0xfffe
	s_xor_b32 s11, exec_lo, s0
	s_cbranch_execz .LBB0_17
; %bb.12:                               ;   in Loop: Header=BB0_3 Depth=1
	v_mov_b32_e32 v13, 0
	v_mov_b32_e32 v14, 0
	s_mov_b32 s12, exec_lo
	v_cmpx_ne_u32_e32 0, v9
	s_cbranch_execz .LBB0_16
; %bb.13:                               ;   in Loop: Header=BB0_3 Depth=1
	v_mov_b32_e32 v13, 0
	v_mov_b32_e32 v14, 0
	s_mov_b64 s[0:1], 0
	s_mov_b32 s13, 0
	s_mov_b64 s[4:5], 0
.LBB0_14:                               ;   Parent Loop BB0_3 Depth=1
                                        ; =>  This Inner Loop Header: Depth=2
	s_wait_alu 0xfffe
	v_add_co_u32 v17, vcc_lo, v15, s4
	s_wait_alu 0xfffd
	v_add_co_ci_u32_e64 v18, null, s5, v16, vcc_lo
	s_add_nc_u64 s[4:5], s[4:5], 1
	s_wait_alu 0xfffe
	v_cmp_eq_u32_e32 vcc_lo, s4, v9
	global_load_u8 v17, v[17:18], off
	v_mov_b32_e32 v18, s7
	s_or_b32 s13, vcc_lo, s13
	s_wait_loadcnt 0x0
	v_and_b32_e32 v17, 0xffff, v17
	s_delay_alu instid0(VALU_DEP_1) | instskip(SKIP_1) | instid1(VALU_DEP_1)
	v_lshlrev_b64_e32 v[17:18], s0, v[17:18]
	s_add_nc_u64 s[0:1], s[0:1], 8
	v_or_b32_e32 v14, v18, v14
	s_delay_alu instid0(VALU_DEP_2)
	v_or_b32_e32 v13, v17, v13
	s_wait_alu 0xfffe
	s_and_not1_b32 exec_lo, exec_lo, s13
	s_cbranch_execnz .LBB0_14
; %bb.15:                               ;   in Loop: Header=BB0_3 Depth=1
	s_or_b32 exec_lo, exec_lo, s13
.LBB0_16:                               ;   in Loop: Header=BB0_3 Depth=1
	s_wait_alu 0xfffe
	s_or_b32 exec_lo, exec_lo, s12
	v_dual_mov_b32 v18, v16 :: v_dual_mov_b32 v17, v15
                                        ; implicit-def: $vgpr9
.LBB0_17:                               ;   in Loop: Header=BB0_3 Depth=1
	s_wait_alu 0xfffe
	s_or_saveexec_b32 s0, s11
	v_mov_b32_e32 v21, 0
	s_wait_alu 0xfffe
	s_xor_b32 exec_lo, exec_lo, s0
	s_cbranch_execz .LBB0_19
; %bb.18:                               ;   in Loop: Header=BB0_3 Depth=1
	global_load_b64 v[13:14], v[15:16], off
	v_add_nc_u32_e32 v21, -8, v9
.LBB0_19:                               ;   in Loop: Header=BB0_3 Depth=1
	s_or_b32 exec_lo, exec_lo, s0
	v_add_co_u32 v19, s0, v17, 8
	s_wait_alu 0xf1ff
	v_add_co_ci_u32_e64 v20, null, 0, v18, s0
	s_mov_b32 s0, exec_lo
	v_cmpx_gt_u32_e32 8, v21
	s_wait_alu 0xfffe
	s_xor_b32 s11, exec_lo, s0
	s_cbranch_execz .LBB0_25
; %bb.20:                               ;   in Loop: Header=BB0_3 Depth=1
	v_mov_b32_e32 v15, 0
	v_mov_b32_e32 v16, 0
	s_mov_b32 s12, exec_lo
	v_cmpx_ne_u32_e32 0, v21
	s_cbranch_execz .LBB0_24
; %bb.21:                               ;   in Loop: Header=BB0_3 Depth=1
	v_mov_b32_e32 v15, 0
	v_mov_b32_e32 v16, 0
	s_mov_b64 s[0:1], 0
	s_mov_b32 s13, 0
	s_mov_b64 s[4:5], 0
.LBB0_22:                               ;   Parent Loop BB0_3 Depth=1
                                        ; =>  This Inner Loop Header: Depth=2
	s_wait_alu 0xfffe
	v_add_co_u32 v19, vcc_lo, v17, s4
	s_wait_alu 0xfffd
	v_add_co_ci_u32_e64 v20, null, s5, v18, vcc_lo
	s_add_nc_u64 s[4:5], s[4:5], 1
	s_wait_alu 0xfffe
	v_cmp_eq_u32_e32 vcc_lo, s4, v21
	global_load_u8 v9, v[19:20], off
	v_mov_b32_e32 v20, s7
	s_or_b32 s13, vcc_lo, s13
	s_wait_loadcnt 0x0
	v_and_b32_e32 v19, 0xffff, v9
	s_delay_alu instid0(VALU_DEP_1) | instskip(SKIP_1) | instid1(VALU_DEP_1)
	v_lshlrev_b64_e32 v[19:20], s0, v[19:20]
	s_add_nc_u64 s[0:1], s[0:1], 8
	v_or_b32_e32 v16, v20, v16
	s_delay_alu instid0(VALU_DEP_2)
	v_or_b32_e32 v15, v19, v15
	s_wait_alu 0xfffe
	s_and_not1_b32 exec_lo, exec_lo, s13
	s_cbranch_execnz .LBB0_22
; %bb.23:                               ;   in Loop: Header=BB0_3 Depth=1
	s_or_b32 exec_lo, exec_lo, s13
.LBB0_24:                               ;   in Loop: Header=BB0_3 Depth=1
	s_wait_alu 0xfffe
	s_or_b32 exec_lo, exec_lo, s12
	v_dual_mov_b32 v20, v18 :: v_dual_mov_b32 v19, v17
                                        ; implicit-def: $vgpr21
.LBB0_25:                               ;   in Loop: Header=BB0_3 Depth=1
	s_wait_alu 0xfffe
	s_or_saveexec_b32 s0, s11
	v_mov_b32_e32 v9, 0
	s_wait_alu 0xfffe
	s_xor_b32 exec_lo, exec_lo, s0
	s_cbranch_execz .LBB0_27
; %bb.26:                               ;   in Loop: Header=BB0_3 Depth=1
	global_load_b64 v[15:16], v[17:18], off
	v_add_nc_u32_e32 v9, -8, v21
.LBB0_27:                               ;   in Loop: Header=BB0_3 Depth=1
	s_or_b32 exec_lo, exec_lo, s0
	v_add_co_u32 v21, s0, v19, 8
	s_wait_alu 0xf1ff
	v_add_co_ci_u32_e64 v22, null, 0, v20, s0
                                        ; implicit-def: $vgpr17_vgpr18
	s_mov_b32 s0, exec_lo
	v_cmpx_gt_u32_e32 8, v9
	s_wait_alu 0xfffe
	s_xor_b32 s11, exec_lo, s0
	s_cbranch_execz .LBB0_33
; %bb.28:                               ;   in Loop: Header=BB0_3 Depth=1
	v_mov_b32_e32 v17, 0
	v_mov_b32_e32 v18, 0
	s_mov_b32 s12, exec_lo
	v_cmpx_ne_u32_e32 0, v9
	s_cbranch_execz .LBB0_32
; %bb.29:                               ;   in Loop: Header=BB0_3 Depth=1
	v_mov_b32_e32 v17, 0
	v_mov_b32_e32 v18, 0
	s_mov_b64 s[0:1], 0
	s_mov_b32 s13, 0
	s_mov_b64 s[4:5], 0
.LBB0_30:                               ;   Parent Loop BB0_3 Depth=1
                                        ; =>  This Inner Loop Header: Depth=2
	s_wait_alu 0xfffe
	v_add_co_u32 v21, vcc_lo, v19, s4
	s_wait_alu 0xfffd
	v_add_co_ci_u32_e64 v22, null, s5, v20, vcc_lo
	s_add_nc_u64 s[4:5], s[4:5], 1
	s_wait_alu 0xfffe
	v_cmp_eq_u32_e32 vcc_lo, s4, v9
	global_load_u8 v21, v[21:22], off
	v_mov_b32_e32 v22, s7
	s_or_b32 s13, vcc_lo, s13
	s_wait_loadcnt 0x0
	v_and_b32_e32 v21, 0xffff, v21
	s_delay_alu instid0(VALU_DEP_1) | instskip(SKIP_1) | instid1(VALU_DEP_1)
	v_lshlrev_b64_e32 v[21:22], s0, v[21:22]
	s_add_nc_u64 s[0:1], s[0:1], 8
	v_or_b32_e32 v18, v22, v18
	s_delay_alu instid0(VALU_DEP_2)
	v_or_b32_e32 v17, v21, v17
	s_wait_alu 0xfffe
	s_and_not1_b32 exec_lo, exec_lo, s13
	s_cbranch_execnz .LBB0_30
; %bb.31:                               ;   in Loop: Header=BB0_3 Depth=1
	s_or_b32 exec_lo, exec_lo, s13
.LBB0_32:                               ;   in Loop: Header=BB0_3 Depth=1
	s_wait_alu 0xfffe
	s_or_b32 exec_lo, exec_lo, s12
	v_dual_mov_b32 v22, v20 :: v_dual_mov_b32 v21, v19
                                        ; implicit-def: $vgpr9
.LBB0_33:                               ;   in Loop: Header=BB0_3 Depth=1
	s_wait_alu 0xfffe
	s_or_saveexec_b32 s0, s11
	v_mov_b32_e32 v25, 0
	s_wait_alu 0xfffe
	s_xor_b32 exec_lo, exec_lo, s0
	s_cbranch_execz .LBB0_35
; %bb.34:                               ;   in Loop: Header=BB0_3 Depth=1
	global_load_b64 v[17:18], v[19:20], off
	v_add_nc_u32_e32 v25, -8, v9
.LBB0_35:                               ;   in Loop: Header=BB0_3 Depth=1
	s_or_b32 exec_lo, exec_lo, s0
	v_add_co_u32 v23, s0, v21, 8
	s_wait_alu 0xf1ff
	v_add_co_ci_u32_e64 v24, null, 0, v22, s0
	s_mov_b32 s0, exec_lo
	v_cmpx_gt_u32_e32 8, v25
	s_wait_alu 0xfffe
	s_xor_b32 s11, exec_lo, s0
	s_cbranch_execz .LBB0_41
; %bb.36:                               ;   in Loop: Header=BB0_3 Depth=1
	v_mov_b32_e32 v19, 0
	v_mov_b32_e32 v20, 0
	s_mov_b32 s12, exec_lo
	v_cmpx_ne_u32_e32 0, v25
	s_cbranch_execz .LBB0_40
; %bb.37:                               ;   in Loop: Header=BB0_3 Depth=1
	v_mov_b32_e32 v19, 0
	v_mov_b32_e32 v20, 0
	s_mov_b64 s[0:1], 0
	s_mov_b32 s13, 0
	s_mov_b64 s[4:5], 0
.LBB0_38:                               ;   Parent Loop BB0_3 Depth=1
                                        ; =>  This Inner Loop Header: Depth=2
	s_wait_alu 0xfffe
	v_add_co_u32 v23, vcc_lo, v21, s4
	s_wait_alu 0xfffd
	v_add_co_ci_u32_e64 v24, null, s5, v22, vcc_lo
	s_add_nc_u64 s[4:5], s[4:5], 1
	s_wait_alu 0xfffe
	v_cmp_eq_u32_e32 vcc_lo, s4, v25
	global_load_u8 v9, v[23:24], off
	v_mov_b32_e32 v24, s7
	s_or_b32 s13, vcc_lo, s13
	s_wait_loadcnt 0x0
	v_and_b32_e32 v23, 0xffff, v9
	s_delay_alu instid0(VALU_DEP_1) | instskip(SKIP_1) | instid1(VALU_DEP_1)
	v_lshlrev_b64_e32 v[23:24], s0, v[23:24]
	s_add_nc_u64 s[0:1], s[0:1], 8
	v_or_b32_e32 v20, v24, v20
	s_delay_alu instid0(VALU_DEP_2)
	v_or_b32_e32 v19, v23, v19
	s_wait_alu 0xfffe
	s_and_not1_b32 exec_lo, exec_lo, s13
	s_cbranch_execnz .LBB0_38
; %bb.39:                               ;   in Loop: Header=BB0_3 Depth=1
	s_or_b32 exec_lo, exec_lo, s13
.LBB0_40:                               ;   in Loop: Header=BB0_3 Depth=1
	s_wait_alu 0xfffe
	s_or_b32 exec_lo, exec_lo, s12
	v_dual_mov_b32 v24, v22 :: v_dual_mov_b32 v23, v21
                                        ; implicit-def: $vgpr25
.LBB0_41:                               ;   in Loop: Header=BB0_3 Depth=1
	s_wait_alu 0xfffe
	s_or_saveexec_b32 s0, s11
	v_mov_b32_e32 v9, 0
	s_wait_alu 0xfffe
	s_xor_b32 exec_lo, exec_lo, s0
	s_cbranch_execz .LBB0_43
; %bb.42:                               ;   in Loop: Header=BB0_3 Depth=1
	global_load_b64 v[19:20], v[21:22], off
	v_add_nc_u32_e32 v9, -8, v25
.LBB0_43:                               ;   in Loop: Header=BB0_3 Depth=1
	s_or_b32 exec_lo, exec_lo, s0
	v_add_co_u32 v25, s0, v23, 8
	s_wait_alu 0xf1ff
	v_add_co_ci_u32_e64 v26, null, 0, v24, s0
                                        ; implicit-def: $vgpr21_vgpr22
	s_mov_b32 s0, exec_lo
	v_cmpx_gt_u32_e32 8, v9
	s_wait_alu 0xfffe
	s_xor_b32 s11, exec_lo, s0
	s_cbranch_execz .LBB0_49
; %bb.44:                               ;   in Loop: Header=BB0_3 Depth=1
	v_mov_b32_e32 v21, 0
	v_mov_b32_e32 v22, 0
	s_mov_b32 s12, exec_lo
	v_cmpx_ne_u32_e32 0, v9
	s_cbranch_execz .LBB0_48
; %bb.45:                               ;   in Loop: Header=BB0_3 Depth=1
	v_mov_b32_e32 v21, 0
	v_mov_b32_e32 v22, 0
	s_mov_b64 s[0:1], 0
	s_mov_b32 s13, 0
	s_mov_b64 s[4:5], 0
.LBB0_46:                               ;   Parent Loop BB0_3 Depth=1
                                        ; =>  This Inner Loop Header: Depth=2
	s_wait_alu 0xfffe
	v_add_co_u32 v25, vcc_lo, v23, s4
	s_wait_alu 0xfffd
	v_add_co_ci_u32_e64 v26, null, s5, v24, vcc_lo
	s_add_nc_u64 s[4:5], s[4:5], 1
	s_wait_alu 0xfffe
	v_cmp_eq_u32_e32 vcc_lo, s4, v9
	global_load_u8 v25, v[25:26], off
	v_mov_b32_e32 v26, s7
	s_or_b32 s13, vcc_lo, s13
	s_wait_loadcnt 0x0
	v_and_b32_e32 v25, 0xffff, v25
	s_delay_alu instid0(VALU_DEP_1) | instskip(SKIP_1) | instid1(VALU_DEP_1)
	v_lshlrev_b64_e32 v[25:26], s0, v[25:26]
	s_add_nc_u64 s[0:1], s[0:1], 8
	v_or_b32_e32 v22, v26, v22
	s_delay_alu instid0(VALU_DEP_2)
	v_or_b32_e32 v21, v25, v21
	s_wait_alu 0xfffe
	s_and_not1_b32 exec_lo, exec_lo, s13
	s_cbranch_execnz .LBB0_46
; %bb.47:                               ;   in Loop: Header=BB0_3 Depth=1
	s_or_b32 exec_lo, exec_lo, s13
.LBB0_48:                               ;   in Loop: Header=BB0_3 Depth=1
	s_wait_alu 0xfffe
	s_or_b32 exec_lo, exec_lo, s12
	v_dual_mov_b32 v26, v24 :: v_dual_mov_b32 v25, v23
                                        ; implicit-def: $vgpr9
.LBB0_49:                               ;   in Loop: Header=BB0_3 Depth=1
	s_wait_alu 0xfffe
	s_or_saveexec_b32 s0, s11
	v_mov_b32_e32 v27, 0
	s_wait_alu 0xfffe
	s_xor_b32 exec_lo, exec_lo, s0
	s_cbranch_execz .LBB0_51
; %bb.50:                               ;   in Loop: Header=BB0_3 Depth=1
	global_load_b64 v[21:22], v[23:24], off
	v_add_nc_u32_e32 v27, -8, v9
.LBB0_51:                               ;   in Loop: Header=BB0_3 Depth=1
	s_or_b32 exec_lo, exec_lo, s0
	s_delay_alu instid0(SALU_CYCLE_1) | instskip(NEXT) | instid1(VALU_DEP_1)
	s_mov_b32 s0, exec_lo
	v_cmpx_gt_u32_e32 8, v27
	s_wait_alu 0xfffe
	s_xor_b32 s1, exec_lo, s0
	s_cbranch_execz .LBB0_57
; %bb.52:                               ;   in Loop: Header=BB0_3 Depth=1
	v_mov_b32_e32 v23, 0
	v_mov_b32_e32 v24, 0
	s_mov_b32 s11, exec_lo
	v_cmpx_ne_u32_e32 0, v27
	s_cbranch_execz .LBB0_56
; %bb.53:                               ;   in Loop: Header=BB0_3 Depth=1
	v_mov_b32_e32 v23, 0
	v_mov_b32_e32 v24, 0
	s_mov_b64 s[4:5], 0
	s_mov_b32 s12, 0
.LBB0_54:                               ;   Parent Loop BB0_3 Depth=1
                                        ; =>  This Inner Loop Header: Depth=2
	global_load_u8 v9, v[25:26], off
	v_dual_mov_b32 v32, s7 :: v_dual_add_nc_u32 v27, -1, v27
	v_add_co_u32 v25, vcc_lo, v25, 1
	s_wait_alu 0xfffd
	v_add_co_ci_u32_e64 v26, null, 0, v26, vcc_lo
	s_delay_alu instid0(VALU_DEP_3) | instskip(SKIP_4) | instid1(VALU_DEP_1)
	v_cmp_eq_u32_e64 s0, 0, v27
	s_wait_alu 0xfffe
	s_or_b32 s12, s0, s12
	s_wait_loadcnt 0x0
	v_and_b32_e32 v31, 0xffff, v9
	v_lshlrev_b64_e32 v[31:32], s4, v[31:32]
	s_add_nc_u64 s[4:5], s[4:5], 8
	s_delay_alu instid0(VALU_DEP_1) | instskip(NEXT) | instid1(VALU_DEP_2)
	v_or_b32_e32 v24, v32, v24
	v_or_b32_e32 v23, v31, v23
	s_wait_alu 0xfffe
	s_and_not1_b32 exec_lo, exec_lo, s12
	s_cbranch_execnz .LBB0_54
; %bb.55:                               ;   in Loop: Header=BB0_3 Depth=1
	s_or_b32 exec_lo, exec_lo, s12
.LBB0_56:                               ;   in Loop: Header=BB0_3 Depth=1
	s_wait_alu 0xfffe
	s_or_b32 exec_lo, exec_lo, s11
                                        ; implicit-def: $vgpr25_vgpr26
.LBB0_57:                               ;   in Loop: Header=BB0_3 Depth=1
	s_wait_alu 0xfffe
	s_and_not1_saveexec_b32 s0, s1
	s_cbranch_execz .LBB0_59
; %bb.58:                               ;   in Loop: Header=BB0_3 Depth=1
	global_load_b64 v[23:24], v[25:26], off
.LBB0_59:                               ;   in Loop: Header=BB0_3 Depth=1
	s_wait_alu 0xfffe
	s_or_b32 exec_lo, exec_lo, s0
	v_readfirstlane_b32 s0, v35
	v_mov_b32_e32 v31, 0
	v_mov_b32_e32 v32, 0
	s_wait_alu 0xf1ff
	s_delay_alu instid0(VALU_DEP_3)
	v_cmp_eq_u32_e64 s0, s0, v35
	s_and_saveexec_b32 s1, s0
	s_cbranch_execz .LBB0_65
; %bb.60:                               ;   in Loop: Header=BB0_3 Depth=1
	s_wait_kmcnt 0x0
	global_load_b64 v[27:28], v10, s[2:3] offset:24 scope:SCOPE_SYS
	s_wait_loadcnt 0x0
	global_inv scope:SCOPE_SYS
	s_clause 0x1
	global_load_b64 v[25:26], v10, s[2:3] offset:40
	global_load_b64 v[31:32], v10, s[2:3]
	s_mov_b32 s4, exec_lo
	s_wait_loadcnt 0x1
	v_and_b32_e32 v9, v26, v28
	v_and_b32_e32 v25, v25, v27
	s_delay_alu instid0(VALU_DEP_2) | instskip(NEXT) | instid1(VALU_DEP_2)
	v_mul_lo_u32 v9, 24, v9
	v_mul_lo_u32 v26, 0, v25
	v_mul_hi_u32 v33, 24, v25
	v_mul_lo_u32 v25, 24, v25
	s_delay_alu instid0(VALU_DEP_3) | instskip(SKIP_1) | instid1(VALU_DEP_2)
	v_add_nc_u32_e32 v9, v9, v26
	s_wait_loadcnt 0x0
	v_add_co_u32 v25, vcc_lo, v31, v25
	s_delay_alu instid0(VALU_DEP_2) | instskip(SKIP_1) | instid1(VALU_DEP_1)
	v_add_nc_u32_e32 v9, v9, v33
	s_wait_alu 0xfffd
	v_add_co_ci_u32_e64 v26, null, v32, v9, vcc_lo
	global_load_b64 v[25:26], v[25:26], off scope:SCOPE_SYS
	s_wait_loadcnt 0x0
	global_atomic_cmpswap_b64 v[31:32], v10, v[25:28], s[2:3] offset:24 th:TH_ATOMIC_RETURN scope:SCOPE_SYS
	s_wait_loadcnt 0x0
	global_inv scope:SCOPE_SYS
	v_cmpx_ne_u64_e64 v[31:32], v[27:28]
	s_cbranch_execz .LBB0_64
; %bb.61:                               ;   in Loop: Header=BB0_3 Depth=1
	s_mov_b32 s5, 0
.LBB0_62:                               ;   Parent Loop BB0_3 Depth=1
                                        ; =>  This Inner Loop Header: Depth=2
	s_sleep 1
	s_clause 0x1
	global_load_b64 v[25:26], v10, s[2:3] offset:40
	global_load_b64 v[33:34], v10, s[2:3]
	v_dual_mov_b32 v27, v31 :: v_dual_mov_b32 v28, v32
	s_wait_loadcnt 0x1
	s_delay_alu instid0(VALU_DEP_1) | instskip(NEXT) | instid1(VALU_DEP_2)
	v_and_b32_e32 v9, v25, v27
	v_and_b32_e32 v25, v26, v28
	s_wait_loadcnt 0x0
	s_delay_alu instid0(VALU_DEP_2) | instskip(NEXT) | instid1(VALU_DEP_1)
	v_mad_co_u64_u32 v[31:32], null, v9, 24, v[33:34]
	v_mov_b32_e32 v9, v32
	s_delay_alu instid0(VALU_DEP_1) | instskip(NEXT) | instid1(VALU_DEP_1)
	v_mad_co_u64_u32 v[25:26], null, v25, 24, v[9:10]
	v_mov_b32_e32 v32, v25
	global_load_b64 v[25:26], v[31:32], off scope:SCOPE_SYS
	s_wait_loadcnt 0x0
	global_atomic_cmpswap_b64 v[31:32], v10, v[25:28], s[2:3] offset:24 th:TH_ATOMIC_RETURN scope:SCOPE_SYS
	s_wait_loadcnt 0x0
	global_inv scope:SCOPE_SYS
	v_cmp_eq_u64_e32 vcc_lo, v[31:32], v[27:28]
	s_wait_alu 0xfffe
	s_or_b32 s5, vcc_lo, s5
	s_wait_alu 0xfffe
	s_and_not1_b32 exec_lo, exec_lo, s5
	s_cbranch_execnz .LBB0_62
; %bb.63:                               ;   in Loop: Header=BB0_3 Depth=1
	s_or_b32 exec_lo, exec_lo, s5
.LBB0_64:                               ;   in Loop: Header=BB0_3 Depth=1
	s_wait_alu 0xfffe
	s_or_b32 exec_lo, exec_lo, s4
.LBB0_65:                               ;   in Loop: Header=BB0_3 Depth=1
	s_wait_alu 0xfffe
	s_or_b32 exec_lo, exec_lo, s1
	s_wait_kmcnt 0x0
	s_clause 0x1
	global_load_b64 v[33:34], v10, s[2:3] offset:40
	global_load_b128 v[25:28], v10, s[2:3]
	v_readfirstlane_b32 s5, v32
	v_readfirstlane_b32 s4, v31
	s_mov_b32 s1, exec_lo
	s_wait_loadcnt 0x1
	s_wait_alu 0xf1ff
	v_and_b32_e32 v34, s5, v34
	v_and_b32_e32 v33, s4, v33
	s_delay_alu instid0(VALU_DEP_2) | instskip(NEXT) | instid1(VALU_DEP_2)
	v_mul_lo_u32 v9, 24, v34
	v_mul_lo_u32 v31, 0, v33
	v_mul_hi_u32 v32, 24, v33
	v_mul_lo_u32 v36, 24, v33
	s_delay_alu instid0(VALU_DEP_3) | instskip(SKIP_1) | instid1(VALU_DEP_2)
	v_add_nc_u32_e32 v9, v9, v31
	s_wait_loadcnt 0x0
	v_add_co_u32 v31, vcc_lo, v25, v36
	s_delay_alu instid0(VALU_DEP_2) | instskip(SKIP_1) | instid1(VALU_DEP_1)
	v_add_nc_u32_e32 v9, v9, v32
	s_wait_alu 0xfffd
	v_add_co_ci_u32_e64 v32, null, v26, v9, vcc_lo
	s_and_saveexec_b32 s11, s0
	s_cbranch_execz .LBB0_67
; %bb.66:                               ;   in Loop: Header=BB0_3 Depth=1
	s_wait_alu 0xfffe
	v_mov_b32_e32 v9, s1
	global_store_b128 v[31:32], v[9:12], off offset:8
.LBB0_67:                               ;   in Loop: Header=BB0_3 Depth=1
	s_wait_alu 0xfffe
	s_or_b32 exec_lo, exec_lo, s11
	v_cmp_gt_u64_e32 vcc_lo, 57, v[4:5]
	v_lshlrev_b64_e32 v[33:34], 12, v[33:34]
	v_lshl_add_u32 v36, v29, 2, 28
	s_wait_alu 0xfffd
	v_dual_cndmask_b32 v9, 0, v6 :: v_dual_and_b32 v0, 0xffffff1f, v0
	s_delay_alu instid0(VALU_DEP_3) | instskip(SKIP_2) | instid1(VALU_DEP_3)
	v_add_co_u32 v27, vcc_lo, v27, v33
	s_wait_alu 0xfffd
	v_add_co_ci_u32_e64 v28, null, v28, v34, vcc_lo
	v_or_b32_e32 v0, v0, v9
	v_lshlrev_b32_e32 v33, 6, v35
	v_readfirstlane_b32 s12, v27
	s_delay_alu instid0(VALU_DEP_4) | instskip(NEXT) | instid1(VALU_DEP_4)
	v_readfirstlane_b32 s13, v28
	v_and_or_b32 v0, 0x1e0, v36, v0
	s_clause 0x3
	global_store_b128 v33, v[0:3], s[12:13]
	global_store_b128 v33, v[13:16], s[12:13] offset:16
	global_store_b128 v33, v[17:20], s[12:13] offset:32
	;; [unrolled: 1-line block ×3, first 2 shown]
	s_and_saveexec_b32 s1, s0
	s_cbranch_execz .LBB0_75
; %bb.68:                               ;   in Loop: Header=BB0_3 Depth=1
	s_clause 0x1
	global_load_b64 v[17:18], v10, s[2:3] offset:32 scope:SCOPE_SYS
	global_load_b64 v[0:1], v10, s[2:3] offset:40
	s_mov_b32 s11, exec_lo
	v_dual_mov_b32 v15, s4 :: v_dual_mov_b32 v16, s5
	s_wait_loadcnt 0x0
	v_and_b32_e32 v1, s5, v1
	v_and_b32_e32 v0, s4, v0
	s_delay_alu instid0(VALU_DEP_2) | instskip(NEXT) | instid1(VALU_DEP_2)
	v_mul_lo_u32 v1, 24, v1
	v_mul_lo_u32 v2, 0, v0
	v_mul_hi_u32 v3, 24, v0
	v_mul_lo_u32 v0, 24, v0
	s_delay_alu instid0(VALU_DEP_3) | instskip(NEXT) | instid1(VALU_DEP_2)
	v_add_nc_u32_e32 v1, v1, v2
	v_add_co_u32 v13, vcc_lo, v25, v0
	s_delay_alu instid0(VALU_DEP_2) | instskip(SKIP_1) | instid1(VALU_DEP_1)
	v_add_nc_u32_e32 v1, v1, v3
	s_wait_alu 0xfffd
	v_add_co_ci_u32_e64 v14, null, v26, v1, vcc_lo
	global_store_b64 v[13:14], v[17:18], off
	global_wb scope:SCOPE_SYS
	s_wait_storecnt 0x0
	global_atomic_cmpswap_b64 v[2:3], v10, v[15:18], s[2:3] offset:32 th:TH_ATOMIC_RETURN scope:SCOPE_SYS
	s_wait_loadcnt 0x0
	v_cmpx_ne_u64_e64 v[2:3], v[17:18]
	s_cbranch_execz .LBB0_71
; %bb.69:                               ;   in Loop: Header=BB0_3 Depth=1
	s_mov_b32 s12, 0
.LBB0_70:                               ;   Parent Loop BB0_3 Depth=1
                                        ; =>  This Inner Loop Header: Depth=2
	v_dual_mov_b32 v0, s4 :: v_dual_mov_b32 v1, s5
	s_sleep 1
	global_store_b64 v[13:14], v[2:3], off
	global_wb scope:SCOPE_SYS
	s_wait_storecnt 0x0
	global_atomic_cmpswap_b64 v[0:1], v10, v[0:3], s[2:3] offset:32 th:TH_ATOMIC_RETURN scope:SCOPE_SYS
	s_wait_loadcnt 0x0
	v_cmp_eq_u64_e32 vcc_lo, v[0:1], v[2:3]
	v_dual_mov_b32 v3, v1 :: v_dual_mov_b32 v2, v0
	s_wait_alu 0xfffe
	s_or_b32 s12, vcc_lo, s12
	s_wait_alu 0xfffe
	s_and_not1_b32 exec_lo, exec_lo, s12
	s_cbranch_execnz .LBB0_70
.LBB0_71:                               ;   in Loop: Header=BB0_3 Depth=1
	s_wait_alu 0xfffe
	s_or_b32 exec_lo, exec_lo, s11
	global_load_b64 v[0:1], v10, s[2:3] offset:16
	s_mov_b32 s12, exec_lo
	s_mov_b32 s11, exec_lo
	s_wait_alu 0xfffe
	v_mbcnt_lo_u32_b32 v2, s12, 0
	s_delay_alu instid0(VALU_DEP_1)
	v_cmpx_eq_u32_e32 0, v2
	s_cbranch_execz .LBB0_73
; %bb.72:                               ;   in Loop: Header=BB0_3 Depth=1
	s_bcnt1_i32_b32 s12, s12
	s_wait_alu 0xfffe
	v_mov_b32_e32 v9, s12
	global_wb scope:SCOPE_SYS
	s_wait_loadcnt 0x0
	s_wait_storecnt 0x0
	global_atomic_add_u64 v[0:1], v[9:10], off offset:8 scope:SCOPE_SYS
.LBB0_73:                               ;   in Loop: Header=BB0_3 Depth=1
	s_or_b32 exec_lo, exec_lo, s11
	s_wait_loadcnt 0x0
	global_load_b64 v[2:3], v[0:1], off offset:16
	s_wait_loadcnt 0x0
	v_cmp_eq_u64_e32 vcc_lo, 0, v[2:3]
	s_cbranch_vccnz .LBB0_75
; %bb.74:                               ;   in Loop: Header=BB0_3 Depth=1
	global_load_b32 v9, v[0:1], off offset:24
	s_wait_loadcnt 0x0
	v_readfirstlane_b32 s11, v9
	global_wb scope:SCOPE_SYS
	s_wait_storecnt 0x0
	global_store_b64 v[2:3], v[9:10], off scope:SCOPE_SYS
	s_and_b32 m0, s11, 0xffffff
	s_sendmsg sendmsg(MSG_INTERRUPT)
.LBB0_75:                               ;   in Loop: Header=BB0_3 Depth=1
	s_wait_alu 0xfffe
	s_or_b32 exec_lo, exec_lo, s1
	v_add_co_u32 v0, vcc_lo, v27, v33
	s_wait_alu 0xfffd
	v_add_co_ci_u32_e64 v1, null, 0, v28, vcc_lo
	s_branch .LBB0_79
.LBB0_76:                               ;   in Loop: Header=BB0_79 Depth=2
	s_wait_alu 0xfffe
	s_or_b32 exec_lo, exec_lo, s1
	s_delay_alu instid0(VALU_DEP_1)
	v_readfirstlane_b32 s1, v2
	s_cmp_eq_u32 s1, 0
	s_cbranch_scc1 .LBB0_78
; %bb.77:                               ;   in Loop: Header=BB0_79 Depth=2
	s_sleep 1
	s_cbranch_execnz .LBB0_79
	s_branch .LBB0_81
.LBB0_78:                               ;   in Loop: Header=BB0_3 Depth=1
	s_branch .LBB0_81
.LBB0_79:                               ;   Parent Loop BB0_3 Depth=1
                                        ; =>  This Inner Loop Header: Depth=2
	v_mov_b32_e32 v2, 1
	s_and_saveexec_b32 s1, s0
	s_cbranch_execz .LBB0_76
; %bb.80:                               ;   in Loop: Header=BB0_79 Depth=2
	global_load_b32 v2, v[31:32], off offset:20 scope:SCOPE_SYS
	s_wait_loadcnt 0x0
	global_inv scope:SCOPE_SYS
	v_and_b32_e32 v2, 1, v2
	s_branch .LBB0_76
.LBB0_81:                               ;   in Loop: Header=BB0_3 Depth=1
	global_load_b128 v[0:3], v[0:1], off
	s_and_saveexec_b32 s11, s0
	s_cbranch_execz .LBB0_2
; %bb.82:                               ;   in Loop: Header=BB0_3 Depth=1
	s_wait_loadcnt 0x0
	s_clause 0x2
	global_load_b64 v[2:3], v10, s[2:3] offset:40
	global_load_b64 v[17:18], v10, s[2:3] offset:24 scope:SCOPE_SYS
	global_load_b64 v[13:14], v10, s[2:3]
	s_wait_loadcnt 0x2
	v_readfirstlane_b32 s12, v2
	v_readfirstlane_b32 s13, v3
	s_add_nc_u64 s[0:1], s[12:13], 1
	s_wait_alu 0xfffe
	s_add_nc_u64 s[4:5], s[0:1], s[4:5]
	s_wait_alu 0xfffe
	s_cmp_eq_u64 s[4:5], 0
	s_cselect_b32 s1, s1, s5
	s_cselect_b32 s0, s0, s4
	s_wait_alu 0xfffe
	v_dual_mov_b32 v16, s1 :: v_dual_mov_b32 v15, s0
	s_and_b64 s[4:5], s[0:1], s[12:13]
	s_wait_alu 0xfffe
	s_mul_u64 s[4:5], s[4:5], 24
	s_wait_loadcnt 0x0
	s_wait_alu 0xfffe
	v_add_co_u32 v2, vcc_lo, v13, s4
	s_wait_alu 0xfffd
	v_add_co_ci_u32_e64 v3, null, s5, v14, vcc_lo
	global_store_b64 v[2:3], v[17:18], off
	global_wb scope:SCOPE_SYS
	s_wait_storecnt 0x0
	global_atomic_cmpswap_b64 v[15:16], v10, v[15:18], s[2:3] offset:24 th:TH_ATOMIC_RETURN scope:SCOPE_SYS
	s_wait_loadcnt 0x0
	v_cmp_ne_u64_e32 vcc_lo, v[15:16], v[17:18]
	s_and_b32 exec_lo, exec_lo, vcc_lo
	s_cbranch_execz .LBB0_2
; %bb.83:                               ;   in Loop: Header=BB0_3 Depth=1
	s_mov_b32 s4, 0
.LBB0_84:                               ;   Parent Loop BB0_3 Depth=1
                                        ; =>  This Inner Loop Header: Depth=2
	v_dual_mov_b32 v13, s0 :: v_dual_mov_b32 v14, s1
	s_sleep 1
	global_store_b64 v[2:3], v[15:16], off
	global_wb scope:SCOPE_SYS
	s_wait_storecnt 0x0
	global_atomic_cmpswap_b64 v[13:14], v10, v[13:16], s[2:3] offset:24 th:TH_ATOMIC_RETURN scope:SCOPE_SYS
	s_wait_loadcnt 0x0
	v_cmp_eq_u64_e32 vcc_lo, v[13:14], v[15:16]
	v_dual_mov_b32 v16, v14 :: v_dual_mov_b32 v15, v13
	s_wait_alu 0xfffe
	s_or_b32 s4, vcc_lo, s4
	s_wait_alu 0xfffe
	s_and_not1_b32 exec_lo, exec_lo, s4
	s_cbranch_execnz .LBB0_84
	s_branch .LBB0_2
.LBB0_85:
	s_or_b32 exec_lo, exec_lo, s10
                                        ; implicit-def: $vgpr0
                                        ; implicit-def: $vgpr35
                                        ; implicit-def: $vgpr1
.LBB0_86:
	s_wait_alu 0xfffe
	s_and_not1_saveexec_b32 s6, s6
	s_cbranch_execz .LBB0_108
; %bb.87:
	s_load_b64 s[2:3], s[8:9], 0x50
	v_readfirstlane_b32 s0, v35
	v_mov_b32_e32 v8, 0
	v_mov_b32_e32 v9, 0
	s_wait_alu 0xf1ff
	s_delay_alu instid0(VALU_DEP_3)
	v_cmp_eq_u32_e64 s0, s0, v35
	s_and_saveexec_b32 s1, s0
	s_cbranch_execz .LBB0_93
; %bb.88:
	s_wait_loadcnt 0x0
	v_mov_b32_e32 v2, 0
	s_mov_b32 s4, exec_lo
	s_wait_kmcnt 0x0
	global_load_b64 v[5:6], v2, s[2:3] offset:24 scope:SCOPE_SYS
	s_wait_loadcnt 0x0
	global_inv scope:SCOPE_SYS
	s_clause 0x1
	global_load_b64 v[3:4], v2, s[2:3] offset:40
	global_load_b64 v[7:8], v2, s[2:3]
	s_wait_loadcnt 0x1
	v_and_b32_e32 v4, v4, v6
	v_and_b32_e32 v3, v3, v5
	s_delay_alu instid0(VALU_DEP_2) | instskip(NEXT) | instid1(VALU_DEP_2)
	v_mul_lo_u32 v4, 24, v4
	v_mul_lo_u32 v9, 0, v3
	v_mul_hi_u32 v10, 24, v3
	v_mul_lo_u32 v3, 24, v3
	s_delay_alu instid0(VALU_DEP_3) | instskip(SKIP_1) | instid1(VALU_DEP_2)
	v_add_nc_u32_e32 v4, v4, v9
	s_wait_loadcnt 0x0
	v_add_co_u32 v3, vcc_lo, v7, v3
	s_delay_alu instid0(VALU_DEP_2) | instskip(SKIP_1) | instid1(VALU_DEP_1)
	v_add_nc_u32_e32 v4, v4, v10
	s_wait_alu 0xfffd
	v_add_co_ci_u32_e64 v4, null, v8, v4, vcc_lo
	global_load_b64 v[3:4], v[3:4], off scope:SCOPE_SYS
	s_wait_loadcnt 0x0
	global_atomic_cmpswap_b64 v[8:9], v2, v[3:6], s[2:3] offset:24 th:TH_ATOMIC_RETURN scope:SCOPE_SYS
	s_wait_loadcnt 0x0
	global_inv scope:SCOPE_SYS
	v_cmpx_ne_u64_e64 v[8:9], v[5:6]
	s_cbranch_execz .LBB0_92
; %bb.89:
	s_mov_b32 s5, 0
.LBB0_90:                               ; =>This Inner Loop Header: Depth=1
	s_sleep 1
	s_clause 0x1
	global_load_b64 v[3:4], v2, s[2:3] offset:40
	global_load_b64 v[10:11], v2, s[2:3]
	v_dual_mov_b32 v5, v8 :: v_dual_mov_b32 v6, v9
	s_wait_loadcnt 0x1
	s_delay_alu instid0(VALU_DEP_1) | instskip(NEXT) | instid1(VALU_DEP_2)
	v_and_b32_e32 v3, v3, v5
	v_and_b32_e32 v4, v4, v6
	s_wait_loadcnt 0x0
	s_delay_alu instid0(VALU_DEP_2) | instskip(NEXT) | instid1(VALU_DEP_1)
	v_mad_co_u64_u32 v[7:8], null, v3, 24, v[10:11]
	v_mov_b32_e32 v3, v8
	s_delay_alu instid0(VALU_DEP_1) | instskip(NEXT) | instid1(VALU_DEP_1)
	v_mad_co_u64_u32 v[3:4], null, v4, 24, v[3:4]
	v_mov_b32_e32 v8, v3
	global_load_b64 v[3:4], v[7:8], off scope:SCOPE_SYS
	s_wait_loadcnt 0x0
	global_atomic_cmpswap_b64 v[8:9], v2, v[3:6], s[2:3] offset:24 th:TH_ATOMIC_RETURN scope:SCOPE_SYS
	s_wait_loadcnt 0x0
	global_inv scope:SCOPE_SYS
	v_cmp_eq_u64_e32 vcc_lo, v[8:9], v[5:6]
	s_wait_alu 0xfffe
	s_or_b32 s5, vcc_lo, s5
	s_wait_alu 0xfffe
	s_and_not1_b32 exec_lo, exec_lo, s5
	s_cbranch_execnz .LBB0_90
; %bb.91:
	s_or_b32 exec_lo, exec_lo, s5
.LBB0_92:
	s_wait_alu 0xfffe
	s_or_b32 exec_lo, exec_lo, s4
.LBB0_93:
	s_wait_alu 0xfffe
	s_or_b32 exec_lo, exec_lo, s1
	v_readfirstlane_b32 s5, v9
	s_wait_loadcnt 0x0
	v_mov_b32_e32 v2, 0
	v_readfirstlane_b32 s4, v8
	s_mov_b32 s1, exec_lo
	s_wait_kmcnt 0x0
	s_clause 0x1
	global_load_b64 v[10:11], v2, s[2:3] offset:40
	global_load_b128 v[4:7], v2, s[2:3]
	s_wait_loadcnt 0x1
	s_wait_alu 0xf1ff
	v_and_b32_e32 v11, s5, v11
	v_and_b32_e32 v10, s4, v10
	s_delay_alu instid0(VALU_DEP_2) | instskip(NEXT) | instid1(VALU_DEP_2)
	v_mul_lo_u32 v3, 24, v11
	v_mul_lo_u32 v8, 0, v10
	v_mul_hi_u32 v9, 24, v10
	v_mul_lo_u32 v12, 24, v10
	s_delay_alu instid0(VALU_DEP_3) | instskip(SKIP_1) | instid1(VALU_DEP_2)
	v_add_nc_u32_e32 v3, v3, v8
	s_wait_loadcnt 0x0
	v_add_co_u32 v8, vcc_lo, v4, v12
	s_delay_alu instid0(VALU_DEP_2) | instskip(SKIP_1) | instid1(VALU_DEP_1)
	v_add_nc_u32_e32 v3, v3, v9
	s_wait_alu 0xfffd
	v_add_co_ci_u32_e64 v9, null, v5, v3, vcc_lo
	s_and_saveexec_b32 s7, s0
	s_cbranch_execz .LBB0_95
; %bb.94:
	s_wait_alu 0xfffe
	v_dual_mov_b32 v12, s1 :: v_dual_mov_b32 v13, v2
	v_dual_mov_b32 v14, 2 :: v_dual_mov_b32 v15, 1
	global_store_b128 v[8:9], v[12:15], off offset:8
.LBB0_95:
	s_wait_alu 0xfffe
	s_or_b32 exec_lo, exec_lo, s7
	v_lshlrev_b64_e32 v[10:11], 12, v[10:11]
	s_mov_b32 s8, 0
	v_and_or_b32 v0, 0xffffff1f, v0, 32
	s_wait_alu 0xfffe
	s_mov_b32 s11, s8
	s_mov_b32 s9, s8
	;; [unrolled: 1-line block ×3, first 2 shown]
	v_add_co_u32 v6, vcc_lo, v6, v10
	s_wait_alu 0xfffd
	v_add_co_ci_u32_e64 v7, null, v7, v11, vcc_lo
	v_dual_mov_b32 v3, v2 :: v_dual_lshlrev_b32 v14, 6, v35
	s_delay_alu instid0(VALU_DEP_3) | instskip(NEXT) | instid1(VALU_DEP_3)
	v_readfirstlane_b32 s12, v6
	v_readfirstlane_b32 s13, v7
	s_wait_alu 0xfffe
	v_dual_mov_b32 v13, s11 :: v_dual_mov_b32 v12, s10
	v_dual_mov_b32 v11, s9 :: v_dual_mov_b32 v10, s8
	s_clause 0x3
	global_store_b128 v14, v[0:3], s[12:13]
	global_store_b128 v14, v[10:13], s[12:13] offset:16
	global_store_b128 v14, v[10:13], s[12:13] offset:32
	;; [unrolled: 1-line block ×3, first 2 shown]
	s_and_saveexec_b32 s1, s0
	s_cbranch_execz .LBB0_102
; %bb.96:
	v_mov_b32_e32 v6, 0
	s_mov_b32 s7, exec_lo
	s_clause 0x1
	global_load_b64 v[12:13], v6, s[2:3] offset:32 scope:SCOPE_SYS
	global_load_b64 v[0:1], v6, s[2:3] offset:40
	v_dual_mov_b32 v11, s5 :: v_dual_mov_b32 v10, s4
	s_wait_loadcnt 0x0
	v_and_b32_e32 v1, s5, v1
	v_and_b32_e32 v0, s4, v0
	s_delay_alu instid0(VALU_DEP_2) | instskip(NEXT) | instid1(VALU_DEP_2)
	v_mul_lo_u32 v1, 24, v1
	v_mul_lo_u32 v2, 0, v0
	v_mul_hi_u32 v3, 24, v0
	v_mul_lo_u32 v0, 24, v0
	s_delay_alu instid0(VALU_DEP_3) | instskip(NEXT) | instid1(VALU_DEP_2)
	v_add_nc_u32_e32 v1, v1, v2
	v_add_co_u32 v4, vcc_lo, v4, v0
	s_delay_alu instid0(VALU_DEP_2) | instskip(SKIP_1) | instid1(VALU_DEP_1)
	v_add_nc_u32_e32 v1, v1, v3
	s_wait_alu 0xfffd
	v_add_co_ci_u32_e64 v5, null, v5, v1, vcc_lo
	global_store_b64 v[4:5], v[12:13], off
	global_wb scope:SCOPE_SYS
	s_wait_storecnt 0x0
	global_atomic_cmpswap_b64 v[2:3], v6, v[10:13], s[2:3] offset:32 th:TH_ATOMIC_RETURN scope:SCOPE_SYS
	s_wait_loadcnt 0x0
	v_cmpx_ne_u64_e64 v[2:3], v[12:13]
	s_cbranch_execz .LBB0_98
.LBB0_97:                               ; =>This Inner Loop Header: Depth=1
	v_dual_mov_b32 v0, s4 :: v_dual_mov_b32 v1, s5
	s_sleep 1
	global_store_b64 v[4:5], v[2:3], off
	global_wb scope:SCOPE_SYS
	s_wait_storecnt 0x0
	global_atomic_cmpswap_b64 v[0:1], v6, v[0:3], s[2:3] offset:32 th:TH_ATOMIC_RETURN scope:SCOPE_SYS
	s_wait_loadcnt 0x0
	v_cmp_eq_u64_e32 vcc_lo, v[0:1], v[2:3]
	v_dual_mov_b32 v3, v1 :: v_dual_mov_b32 v2, v0
	s_or_b32 s8, vcc_lo, s8
	s_wait_alu 0xfffe
	s_and_not1_b32 exec_lo, exec_lo, s8
	s_cbranch_execnz .LBB0_97
.LBB0_98:
	s_wait_alu 0xfffe
	s_or_b32 exec_lo, exec_lo, s7
	v_mov_b32_e32 v3, 0
	s_mov_b32 s8, exec_lo
	s_mov_b32 s7, exec_lo
	s_wait_alu 0xfffe
	v_mbcnt_lo_u32_b32 v2, s8, 0
	global_load_b64 v[0:1], v3, s[2:3] offset:16
	v_cmpx_eq_u32_e32 0, v2
	s_cbranch_execz .LBB0_100
; %bb.99:
	s_bcnt1_i32_b32 s8, s8
	s_wait_alu 0xfffe
	v_mov_b32_e32 v2, s8
	global_wb scope:SCOPE_SYS
	s_wait_loadcnt 0x0
	s_wait_storecnt 0x0
	global_atomic_add_u64 v[0:1], v[2:3], off offset:8 scope:SCOPE_SYS
.LBB0_100:
	s_or_b32 exec_lo, exec_lo, s7
	s_wait_loadcnt 0x0
	global_load_b64 v[2:3], v[0:1], off offset:16
	s_wait_loadcnt 0x0
	v_cmp_eq_u64_e32 vcc_lo, 0, v[2:3]
	s_cbranch_vccnz .LBB0_102
; %bb.101:
	global_load_b32 v0, v[0:1], off offset:24
	v_mov_b32_e32 v1, 0
	s_wait_loadcnt 0x0
	v_readfirstlane_b32 s7, v0
	global_wb scope:SCOPE_SYS
	s_wait_storecnt 0x0
	global_store_b64 v[2:3], v[0:1], off scope:SCOPE_SYS
	s_and_b32 m0, s7, 0xffffff
	s_sendmsg sendmsg(MSG_INTERRUPT)
.LBB0_102:
	s_wait_alu 0xfffe
	s_or_b32 exec_lo, exec_lo, s1
	s_branch .LBB0_106
.LBB0_103:                              ;   in Loop: Header=BB0_106 Depth=1
	s_wait_alu 0xfffe
	s_or_b32 exec_lo, exec_lo, s1
	s_delay_alu instid0(VALU_DEP_1)
	v_readfirstlane_b32 s1, v0
	s_cmp_eq_u32 s1, 0
	s_cbranch_scc1 .LBB0_105
; %bb.104:                              ;   in Loop: Header=BB0_106 Depth=1
	s_sleep 1
	s_cbranch_execnz .LBB0_106
	s_branch .LBB0_109
.LBB0_105:
	s_branch .LBB0_109
.LBB0_106:                              ; =>This Inner Loop Header: Depth=1
	v_mov_b32_e32 v0, 1
	s_and_saveexec_b32 s1, s0
	s_cbranch_execz .LBB0_103
; %bb.107:                              ;   in Loop: Header=BB0_106 Depth=1
	global_load_b32 v0, v[8:9], off offset:20 scope:SCOPE_SYS
	s_wait_loadcnt 0x0
	global_inv scope:SCOPE_SYS
	v_and_b32_e32 v0, 1, v0
	s_branch .LBB0_103
.LBB0_108:
	s_wait_alu 0xfffe
	s_or_b32 exec_lo, exec_lo, s6
	s_wait_loadcnt 0x0
	s_wait_kmcnt 0x0
	s_setpc_b64 s[30:31]
.LBB0_109:
	s_and_saveexec_b32 s7, s0
	s_cbranch_execz .LBB0_113
; %bb.110:
	v_mov_b32_e32 v6, 0
	s_clause 0x2
	global_load_b64 v[0:1], v6, s[2:3] offset:40
	global_load_b64 v[9:10], v6, s[2:3] offset:24 scope:SCOPE_SYS
	global_load_b64 v[2:3], v6, s[2:3]
	s_wait_loadcnt 0x2
	v_readfirstlane_b32 s8, v0
	v_readfirstlane_b32 s9, v1
	s_add_nc_u64 s[0:1], s[8:9], 1
	s_wait_alu 0xfffe
	s_add_nc_u64 s[4:5], s[0:1], s[4:5]
	s_wait_alu 0xfffe
	s_cmp_eq_u64 s[4:5], 0
	s_cselect_b32 s1, s1, s5
	s_cselect_b32 s0, s0, s4
	s_wait_alu 0xfffe
	v_mov_b32_e32 v8, s1
	s_and_b64 s[4:5], s[0:1], s[8:9]
	v_mov_b32_e32 v7, s0
	s_wait_alu 0xfffe
	s_mul_u64 s[4:5], s[4:5], 24
	s_wait_loadcnt 0x0
	s_wait_alu 0xfffe
	v_add_co_u32 v4, vcc_lo, v2, s4
	s_wait_alu 0xfffd
	v_add_co_ci_u32_e64 v5, null, s5, v3, vcc_lo
	global_store_b64 v[4:5], v[9:10], off
	global_wb scope:SCOPE_SYS
	s_wait_storecnt 0x0
	global_atomic_cmpswap_b64 v[2:3], v6, v[7:10], s[2:3] offset:24 th:TH_ATOMIC_RETURN scope:SCOPE_SYS
	s_wait_loadcnt 0x0
	v_cmp_ne_u64_e32 vcc_lo, v[2:3], v[9:10]
	s_and_b32 exec_lo, exec_lo, vcc_lo
	s_cbranch_execz .LBB0_113
; %bb.111:
	s_mov_b32 s4, 0
.LBB0_112:                              ; =>This Inner Loop Header: Depth=1
	v_dual_mov_b32 v0, s0 :: v_dual_mov_b32 v1, s1
	s_sleep 1
	global_store_b64 v[4:5], v[2:3], off
	global_wb scope:SCOPE_SYS
	s_wait_storecnt 0x0
	global_atomic_cmpswap_b64 v[0:1], v6, v[0:3], s[2:3] offset:24 th:TH_ATOMIC_RETURN scope:SCOPE_SYS
	s_wait_loadcnt 0x0
	v_cmp_eq_u64_e32 vcc_lo, v[0:1], v[2:3]
	v_dual_mov_b32 v3, v1 :: v_dual_mov_b32 v2, v0
	s_wait_alu 0xfffe
	s_or_b32 s4, vcc_lo, s4
	s_wait_alu 0xfffe
	s_and_not1_b32 exec_lo, exec_lo, s4
	s_cbranch_execnz .LBB0_112
.LBB0_113:
	s_wait_alu 0xfffe
	s_or_b32 exec_lo, exec_lo, s7
	s_delay_alu instid0(SALU_CYCLE_1)
	s_or_b32 exec_lo, exec_lo, s6
	s_wait_loadcnt 0x0
	s_wait_kmcnt 0x0
	s_setpc_b64 s[30:31]
.Lfunc_end0:
	.size	__ockl_fprintf_append_string_n, .Lfunc_end0-__ockl_fprintf_append_string_n
                                        ; -- End function
	.set .L__ockl_fprintf_append_string_n.num_vgpr, 37
	.set .L__ockl_fprintf_append_string_n.num_agpr, 0
	.set .L__ockl_fprintf_append_string_n.numbered_sgpr, 32
	.set .L__ockl_fprintf_append_string_n.num_named_barrier, 0
	.set .L__ockl_fprintf_append_string_n.private_seg_size, 0
	.set .L__ockl_fprintf_append_string_n.uses_vcc, 1
	.set .L__ockl_fprintf_append_string_n.uses_flat_scratch, 0
	.set .L__ockl_fprintf_append_string_n.has_dyn_sized_stack, 0
	.set .L__ockl_fprintf_append_string_n.has_recursion, 0
	.set .L__ockl_fprintf_append_string_n.has_indirect_call, 0
	.section	.AMDGPU.csdata,"",@progbits
; Function info:
; codeLenInByte = 5256
; TotalNumSgprs: 34
; NumVgprs: 37
; ScratchSize: 0
; MemoryBound: 0
	.text
	.p2align	2                               ; -- Begin function __assert_fail
	.type	__assert_fail,@function
__assert_fail:                          ; @__assert_fail
; %bb.0:
	s_wait_loadcnt_dscnt 0x0
	s_wait_expcnt 0x0
	s_wait_samplecnt 0x0
	s_wait_bvhcnt 0x0
	s_wait_kmcnt 0x0
	s_mov_b32 s16, s33
	s_mov_b32 s33, s32
	s_or_saveexec_b32 s0, -1
	scratch_store_b32 off, v40, s33 offset:48 ; 4-byte Folded Spill
	s_wait_alu 0xfffe
	s_mov_b32 exec_lo, s0
	v_writelane_b32 v40, s30, 0
	s_add_co_i32 s32, s32, 64
	v_writelane_b32 v40, s31, 1
	v_mov_b32_e32 v9, 0
	s_getpc_b64 s[0:1]
	s_wait_alu 0xfffe
	s_sext_i32_i16 s1, s1
	s_add_co_u32 s0, s0, __const.__assert_fail.fmt@rel32@lo+43
	s_wait_alu 0xfffe
	s_add_co_ci_u32 s1, s1, __const.__assert_fail.fmt@rel32@hi+55
	v_mbcnt_lo_u32_b32 v50, -1, 0
	v_dual_mov_b32 v8, v1 :: v_dual_mov_b32 v7, v0
	global_load_b128 v[10:13], v9, s[0:1]
	s_getpc_b64 s[0:1]
	s_wait_alu 0xfffe
	s_sext_i32_i16 s1, s1
	s_add_co_u32 s0, s0, __const.__assert_fail.fmt@rel32@lo+12
	s_wait_alu 0xfffe
	s_add_co_ci_u32 s1, s1, __const.__assert_fail.fmt@rel32@hi+24
	s_getpc_b64 s[2:3]
	s_wait_alu 0xfffe
	s_sext_i32_i16 s3, s3
	s_add_co_u32 s2, s2, __const.__assert_fail.fmt@rel32@lo+28
	s_wait_alu 0xfffe
	s_add_co_ci_u32 s3, s3, __const.__assert_fail.fmt@rel32@hi+40
	s_clause 0x1
	s_load_b128 s[4:7], s[0:1], 0x0
	s_load_b128 s[12:15], s[2:3], 0x0
	s_load_b64 s[2:3], s[8:9], 0x50
	v_readfirstlane_b32 s0, v50
	v_mov_b32_e32 v0, 0
	v_mov_b32_e32 v1, 0
	s_wait_alu 0xf1ff
	s_delay_alu instid0(VALU_DEP_3)
	v_cmp_eq_u32_e64 s0, s0, v50
	s_wait_kmcnt 0x0
	v_dual_mov_b32 v17, s7 :: v_dual_mov_b32 v14, s4
	v_dual_mov_b32 v21, s15 :: v_dual_mov_b32 v18, s12
	;; [unrolled: 1-line block ×4, first 2 shown]
	s_clause 0x1
	scratch_store_b128 off, v[14:17], s33
	scratch_store_b128 off, v[18:21], s33 offset:16
	s_wait_loadcnt 0x0
	scratch_store_b128 off, v[10:13], s33 offset:31
	s_and_saveexec_b32 s1, s0
	s_cbranch_execz .LBB1_6
; %bb.1:
	global_load_b64 v[12:13], v9, s[2:3] offset:24 scope:SCOPE_SYS
	s_wait_loadcnt 0x0
	global_inv scope:SCOPE_SYS
	s_clause 0x1
	global_load_b64 v[0:1], v9, s[2:3] offset:40
	global_load_b64 v[10:11], v9, s[2:3]
	s_mov_b32 s4, exec_lo
	s_wait_loadcnt 0x1
	v_and_b32_e32 v1, v1, v13
	v_and_b32_e32 v0, v0, v12
	s_delay_alu instid0(VALU_DEP_2) | instskip(NEXT) | instid1(VALU_DEP_2)
	v_mul_lo_u32 v1, 24, v1
	v_mul_lo_u32 v14, 0, v0
	v_mul_hi_u32 v15, 24, v0
	v_mul_lo_u32 v0, 24, v0
	s_delay_alu instid0(VALU_DEP_3) | instskip(SKIP_1) | instid1(VALU_DEP_2)
	v_add_nc_u32_e32 v1, v1, v14
	s_wait_loadcnt 0x0
	v_add_co_u32 v0, vcc_lo, v10, v0
	s_delay_alu instid0(VALU_DEP_2) | instskip(SKIP_1) | instid1(VALU_DEP_1)
	v_add_nc_u32_e32 v1, v1, v15
	s_wait_alu 0xfffd
	v_add_co_ci_u32_e64 v1, null, v11, v1, vcc_lo
	global_load_b64 v[10:11], v[0:1], off scope:SCOPE_SYS
	s_wait_loadcnt 0x0
	global_atomic_cmpswap_b64 v[0:1], v9, v[10:13], s[2:3] offset:24 th:TH_ATOMIC_RETURN scope:SCOPE_SYS
	s_wait_loadcnt 0x0
	global_inv scope:SCOPE_SYS
	v_cmpx_ne_u64_e64 v[0:1], v[12:13]
	s_cbranch_execz .LBB1_5
; %bb.2:
	v_mov_b32_e32 v10, 0
	s_mov_b32 s5, 0
.LBB1_3:                                ; =>This Inner Loop Header: Depth=1
	s_sleep 1
	s_clause 0x1
	global_load_b64 v[11:12], v10, s[2:3] offset:40
	global_load_b64 v[15:16], v10, s[2:3]
	v_dual_mov_b32 v14, v1 :: v_dual_mov_b32 v13, v0
	s_wait_loadcnt 0x1
	s_delay_alu instid0(VALU_DEP_1) | instskip(NEXT) | instid1(VALU_DEP_2)
	v_and_b32_e32 v0, v11, v13
	v_and_b32_e32 v11, v12, v14
	s_wait_loadcnt 0x0
	s_delay_alu instid0(VALU_DEP_2) | instskip(NEXT) | instid1(VALU_DEP_1)
	v_mad_co_u64_u32 v[0:1], null, v0, 24, v[15:16]
	v_mad_co_u64_u32 v[11:12], null, v11, 24, v[1:2]
	s_delay_alu instid0(VALU_DEP_1)
	v_mov_b32_e32 v1, v11
	global_load_b64 v[11:12], v[0:1], off scope:SCOPE_SYS
	s_wait_loadcnt 0x0
	global_atomic_cmpswap_b64 v[0:1], v10, v[11:14], s[2:3] offset:24 th:TH_ATOMIC_RETURN scope:SCOPE_SYS
	s_wait_loadcnt 0x0
	global_inv scope:SCOPE_SYS
	v_cmp_eq_u64_e32 vcc_lo, v[0:1], v[13:14]
	s_wait_alu 0xfffe
	s_or_b32 s5, vcc_lo, s5
	s_wait_alu 0xfffe
	s_and_not1_b32 exec_lo, exec_lo, s5
	s_cbranch_execnz .LBB1_3
; %bb.4:
	s_or_b32 exec_lo, exec_lo, s5
.LBB1_5:
	s_wait_alu 0xfffe
	s_or_b32 exec_lo, exec_lo, s4
.LBB1_6:
	s_wait_alu 0xfffe
	s_or_b32 exec_lo, exec_lo, s1
	s_clause 0x1
	global_load_b64 v[13:14], v9, s[2:3] offset:40
	global_load_b128 v[9:12], v9, s[2:3]
	v_readfirstlane_b32 s5, v1
	v_readfirstlane_b32 s4, v0
	s_mov_b32 s1, exec_lo
	s_wait_loadcnt 0x1
	s_wait_alu 0xf1ff
	v_and_b32_e32 v14, s5, v14
	v_and_b32_e32 v13, s4, v13
	s_delay_alu instid0(VALU_DEP_2) | instskip(NEXT) | instid1(VALU_DEP_2)
	v_mul_lo_u32 v0, 24, v14
	v_mul_lo_u32 v1, 0, v13
	v_mul_hi_u32 v15, 24, v13
	v_mul_lo_u32 v16, 24, v13
	s_delay_alu instid0(VALU_DEP_3) | instskip(NEXT) | instid1(VALU_DEP_1)
	v_add_nc_u32_e32 v0, v0, v1
	v_add_nc_u32_e32 v1, v0, v15
	s_wait_loadcnt 0x0
	s_delay_alu instid0(VALU_DEP_3) | instskip(SKIP_1) | instid1(VALU_DEP_2)
	v_add_co_u32 v0, vcc_lo, v9, v16
	s_wait_alu 0xfffd
	v_add_co_ci_u32_e64 v1, null, v10, v1, vcc_lo
	s_and_saveexec_b32 s6, s0
	s_cbranch_execz .LBB1_8
; %bb.7:
	s_wait_alu 0xfffe
	v_dual_mov_b32 v15, s1 :: v_dual_mov_b32 v16, 0
	v_dual_mov_b32 v17, 2 :: v_dual_mov_b32 v18, 1
	global_store_b128 v[0:1], v[15:18], off offset:8
.LBB1_8:
	s_wait_alu 0xfffe
	s_or_b32 exec_lo, exec_lo, s6
	v_lshlrev_b64_e32 v[16:17], 12, v[13:14]
	v_dual_mov_b32 v14, 0 :: v_dual_lshlrev_b32 v39, 6, v50
	s_mov_b32 s12, 0
	v_mov_b32_e32 v13, 33
	s_wait_alu 0xfffe
	s_mov_b32 s15, s12
	v_add_co_u32 v11, vcc_lo, v11, v16
	s_wait_alu 0xfffd
	v_add_co_ci_u32_e64 v12, null, v12, v17, vcc_lo
	s_mov_b32 s13, s12
	v_add_co_u32 v17, vcc_lo, v11, v39
	s_mov_b32 s14, s12
	s_wait_alu 0xfffe
	v_dual_mov_b32 v15, 1 :: v_dual_mov_b32 v22, s15
	v_mov_b32_e32 v16, v14
	v_readfirstlane_b32 s6, v11
	v_readfirstlane_b32 s7, v12
	s_wait_alu 0xfffd
	v_add_co_ci_u32_e64 v18, null, 0, v12, vcc_lo
	v_dual_mov_b32 v21, s14 :: v_dual_mov_b32 v20, s13
	v_mov_b32_e32 v19, s12
	s_clause 0x3
	global_store_b128 v39, v[13:16], s[6:7]
	global_store_b128 v39, v[19:22], s[6:7] offset:16
	global_store_b128 v39, v[19:22], s[6:7] offset:32
	;; [unrolled: 1-line block ×3, first 2 shown]
	s_and_saveexec_b32 s1, s0
	s_cbranch_execz .LBB1_16
; %bb.9:
	s_clause 0x1
	global_load_b64 v[21:22], v14, s[2:3] offset:32 scope:SCOPE_SYS
	global_load_b64 v[11:12], v14, s[2:3] offset:40
	s_mov_b32 s6, exec_lo
	v_dual_mov_b32 v19, s4 :: v_dual_mov_b32 v20, s5
	s_wait_loadcnt 0x0
	v_and_b32_e32 v11, s4, v11
	v_and_b32_e32 v12, s5, v12
	s_delay_alu instid0(VALU_DEP_2) | instskip(NEXT) | instid1(VALU_DEP_2)
	v_mul_lo_u32 v13, 0, v11
	v_mul_lo_u32 v12, 24, v12
	v_mul_hi_u32 v15, 24, v11
	v_mul_lo_u32 v11, 24, v11
	s_delay_alu instid0(VALU_DEP_3) | instskip(NEXT) | instid1(VALU_DEP_1)
	v_add_nc_u32_e32 v12, v12, v13
	v_add_nc_u32_e32 v12, v12, v15
	s_delay_alu instid0(VALU_DEP_3) | instskip(SKIP_1) | instid1(VALU_DEP_2)
	v_add_co_u32 v15, vcc_lo, v9, v11
	s_wait_alu 0xfffd
	v_add_co_ci_u32_e64 v16, null, v10, v12, vcc_lo
	global_store_b64 v[15:16], v[21:22], off
	global_wb scope:SCOPE_SYS
	s_wait_storecnt 0x0
	global_atomic_cmpswap_b64 v[11:12], v14, v[19:22], s[2:3] offset:32 th:TH_ATOMIC_RETURN scope:SCOPE_SYS
	s_wait_loadcnt 0x0
	v_cmpx_ne_u64_e64 v[11:12], v[21:22]
	s_cbranch_execz .LBB1_12
; %bb.10:
	v_mov_b32_e32 v13, 0
	s_mov_b32 s7, 0
.LBB1_11:                               ; =>This Inner Loop Header: Depth=1
	v_dual_mov_b32 v9, s4 :: v_dual_mov_b32 v10, s5
	s_sleep 1
	global_store_b64 v[15:16], v[11:12], off
	global_wb scope:SCOPE_SYS
	s_wait_storecnt 0x0
	global_atomic_cmpswap_b64 v[9:10], v13, v[9:12], s[2:3] offset:32 th:TH_ATOMIC_RETURN scope:SCOPE_SYS
	s_wait_loadcnt 0x0
	v_cmp_eq_u64_e32 vcc_lo, v[9:10], v[11:12]
	v_dual_mov_b32 v12, v10 :: v_dual_mov_b32 v11, v9
	s_wait_alu 0xfffe
	s_or_b32 s7, vcc_lo, s7
	s_wait_alu 0xfffe
	s_and_not1_b32 exec_lo, exec_lo, s7
	s_cbranch_execnz .LBB1_11
.LBB1_12:
	s_wait_alu 0xfffe
	s_or_b32 exec_lo, exec_lo, s6
	v_mov_b32_e32 v12, 0
	s_mov_b32 s7, exec_lo
	s_mov_b32 s6, exec_lo
	s_wait_alu 0xfffe
	v_mbcnt_lo_u32_b32 v11, s7, 0
	global_load_b64 v[9:10], v12, s[2:3] offset:16
	v_cmpx_eq_u32_e32 0, v11
	s_cbranch_execz .LBB1_14
; %bb.13:
	s_bcnt1_i32_b32 s7, s7
	s_wait_alu 0xfffe
	v_mov_b32_e32 v11, s7
	global_wb scope:SCOPE_SYS
	s_wait_loadcnt 0x0
	s_wait_storecnt 0x0
	global_atomic_add_u64 v[9:10], v[11:12], off offset:8 scope:SCOPE_SYS
.LBB1_14:
	s_or_b32 exec_lo, exec_lo, s6
	s_wait_loadcnt 0x0
	global_load_b64 v[11:12], v[9:10], off offset:16
	s_wait_loadcnt 0x0
	v_cmp_eq_u64_e32 vcc_lo, 0, v[11:12]
	s_cbranch_vccnz .LBB1_16
; %bb.15:
	global_load_b32 v9, v[9:10], off offset:24
	v_mov_b32_e32 v10, 0
	s_wait_loadcnt 0x0
	v_readfirstlane_b32 s6, v9
	global_wb scope:SCOPE_SYS
	s_wait_storecnt 0x0
	global_store_b64 v[11:12], v[9:10], off scope:SCOPE_SYS
	s_and_b32 m0, s6, 0xffffff
	s_sendmsg sendmsg(MSG_INTERRUPT)
.LBB1_16:
	s_wait_alu 0xfffe
	s_or_b32 exec_lo, exec_lo, s1
	s_branch .LBB1_20
.LBB1_17:                               ;   in Loop: Header=BB1_20 Depth=1
	s_wait_alu 0xfffe
	s_or_b32 exec_lo, exec_lo, s1
	s_delay_alu instid0(VALU_DEP_1)
	v_readfirstlane_b32 s1, v9
	s_cmp_eq_u32 s1, 0
	s_cbranch_scc1 .LBB1_19
; %bb.18:                               ;   in Loop: Header=BB1_20 Depth=1
	s_sleep 1
	s_cbranch_execnz .LBB1_20
	s_branch .LBB1_22
.LBB1_19:
	s_branch .LBB1_22
.LBB1_20:                               ; =>This Inner Loop Header: Depth=1
	v_mov_b32_e32 v9, 1
	s_and_saveexec_b32 s1, s0
	s_cbranch_execz .LBB1_17
; %bb.21:                               ;   in Loop: Header=BB1_20 Depth=1
	global_load_b32 v9, v[0:1], off offset:20 scope:SCOPE_SYS
	s_wait_loadcnt 0x0
	global_inv scope:SCOPE_SYS
	v_and_b32_e32 v9, 1, v9
	s_branch .LBB1_17
.LBB1_22:
	global_load_b64 v[13:14], v[17:18], off
	s_and_saveexec_b32 s6, s0
	s_cbranch_execz .LBB1_26
; %bb.23:
	v_mov_b32_e32 v15, 0
	s_clause 0x2
	global_load_b64 v[0:1], v15, s[2:3] offset:40
	global_load_b64 v[18:19], v15, s[2:3] offset:24 scope:SCOPE_SYS
	global_load_b64 v[9:10], v15, s[2:3]
	s_wait_loadcnt 0x2
	v_readfirstlane_b32 s10, v0
	v_readfirstlane_b32 s11, v1
	s_add_nc_u64 s[0:1], s[10:11], 1
	s_wait_alu 0xfffe
	s_add_nc_u64 s[4:5], s[0:1], s[4:5]
	s_wait_alu 0xfffe
	s_cmp_eq_u64 s[4:5], 0
	s_cselect_b32 s1, s1, s5
	s_cselect_b32 s0, s0, s4
	s_wait_alu 0xfffe
	v_mov_b32_e32 v17, s1
	s_and_b64 s[4:5], s[0:1], s[10:11]
	v_mov_b32_e32 v16, s0
	s_wait_alu 0xfffe
	s_mul_u64 s[4:5], s[4:5], 24
	s_wait_loadcnt 0x0
	s_wait_alu 0xfffe
	v_add_co_u32 v0, vcc_lo, v9, s4
	s_wait_alu 0xfffd
	v_add_co_ci_u32_e64 v1, null, s5, v10, vcc_lo
	global_store_b64 v[0:1], v[18:19], off
	global_wb scope:SCOPE_SYS
	s_wait_storecnt 0x0
	global_atomic_cmpswap_b64 v[11:12], v15, v[16:19], s[2:3] offset:24 th:TH_ATOMIC_RETURN scope:SCOPE_SYS
	s_wait_loadcnt 0x0
	v_cmp_ne_u64_e32 vcc_lo, v[11:12], v[18:19]
	s_and_b32 exec_lo, exec_lo, vcc_lo
	s_cbranch_execz .LBB1_26
; %bb.24:
	s_mov_b32 s4, 0
.LBB1_25:                               ; =>This Inner Loop Header: Depth=1
	v_dual_mov_b32 v9, s0 :: v_dual_mov_b32 v10, s1
	s_sleep 1
	global_store_b64 v[0:1], v[11:12], off
	global_wb scope:SCOPE_SYS
	s_wait_storecnt 0x0
	global_atomic_cmpswap_b64 v[9:10], v15, v[9:12], s[2:3] offset:24 th:TH_ATOMIC_RETURN scope:SCOPE_SYS
	s_wait_loadcnt 0x0
	v_cmp_eq_u64_e32 vcc_lo, v[9:10], v[11:12]
	v_dual_mov_b32 v12, v10 :: v_dual_mov_b32 v11, v9
	s_wait_alu 0xfffe
	s_or_b32 s4, vcc_lo, s4
	s_wait_alu 0xfffe
	s_and_not1_b32 exec_lo, exec_lo, s4
	s_cbranch_execnz .LBB1_25
.LBB1_26:
	s_wait_alu 0xfffe
	s_or_b32 exec_lo, exec_lo, s6
	s_mov_b32 s1, s33
	s_mov_b32 s0, 0
.LBB1_27:                               ; =>This Inner Loop Header: Depth=1
	scratch_load_u8 v0, off, s1
	s_wait_alu 0xfffe
	s_add_co_i32 s1, s1, 1
	s_wait_loadcnt 0x0
	v_cmp_eq_u16_e32 vcc_lo, 0, v0
	s_wait_alu 0xfffe
	v_mov_b32_e32 v0, s1
	s_or_b32 s0, vcc_lo, s0
	s_wait_alu 0xfffe
	s_and_not1_b32 exec_lo, exec_lo, s0
	s_cbranch_execnz .LBB1_27
; %bb.28:
	s_or_b32 exec_lo, exec_lo, s0
	s_cmp_lg_u32 s33, -1
	s_cbranch_scc0 .LBB1_113
; %bb.29:
	v_subrev_nc_u32_e32 v0, s33, v0
	v_dual_mov_b32 v16, 0 :: v_dual_and_b32 v51, 2, v13
	v_dual_mov_b32 v10, v14 :: v_dual_and_b32 v9, -3, v13
	s_delay_alu instid0(VALU_DEP_3)
	v_ashrrev_i32_e32 v1, 31, v0
	v_dual_mov_b32 v52, s33 :: v_dual_mov_b32 v17, 2
	v_mov_b32_e32 v18, 1
	s_mov_b32 s7, 0
	s_mov_b32 s6, 0
	s_branch .LBB1_31
.LBB1_30:                               ;   in Loop: Header=BB1_31 Depth=1
	s_wait_alu 0xfffe
	s_or_b32 exec_lo, exec_lo, s10
	v_sub_co_u32 v0, vcc_lo, v0, v35
	s_wait_alu 0xfffd
	v_sub_co_ci_u32_e64 v1, null, v1, v36, vcc_lo
	v_add_nc_u32_e32 v52, v52, v35
	s_delay_alu instid0(VALU_DEP_2)
	v_cmp_eq_u64_e32 vcc_lo, 0, v[0:1]
	s_or_b32 s6, vcc_lo, s6
	s_wait_alu 0xfffe
	s_and_not1_b32 exec_lo, exec_lo, s6
	s_cbranch_execz .LBB1_114
.LBB1_31:                               ; =>This Loop Header: Depth=1
                                        ;     Child Loop BB1_34 Depth 2
                                        ;     Child Loop BB1_42 Depth 2
	;; [unrolled: 1-line block ×11, first 2 shown]
	v_cmp_gt_u64_e32 vcc_lo, 56, v[0:1]
	v_add_nc_u32_e32 v21, 8, v52
	s_mov_b32 s1, exec_lo
	s_wait_alu 0xfffd
	v_dual_cndmask_b32 v36, 0, v1 :: v_dual_cndmask_b32 v35, 56, v0
	v_cmpx_gt_u64_e32 8, v[0:1]
	s_wait_alu 0xfffe
	s_xor_b32 s4, exec_lo, s1
	s_cbranch_execz .LBB1_37
; %bb.32:                               ;   in Loop: Header=BB1_31 Depth=1
	v_mov_b32_e32 v11, 0
	v_mov_b32_e32 v12, 0
	s_mov_b32 s5, exec_lo
	v_cmpx_ne_u64_e32 0, v[0:1]
	s_cbranch_execz .LBB1_36
; %bb.33:                               ;   in Loop: Header=BB1_31 Depth=1
	v_lshlrev_b64_e32 v[19:20], 3, v[35:36]
	v_mov_b32_e32 v11, 0
	v_dual_mov_b32 v12, 0 :: v_dual_mov_b32 v15, v52
	s_mov_b64 s[0:1], 0
	s_mov_b32 s10, 0
.LBB1_34:                               ;   Parent Loop BB1_31 Depth=1
                                        ; =>  This Inner Loop Header: Depth=2
	scratch_load_u8 v20, v15, off
	v_mov_b32_e32 v21, s7
	v_add_nc_u32_e32 v15, 1, v15
	s_wait_loadcnt 0x0
	v_and_b32_e32 v20, 0xffff, v20
	s_wait_alu 0xfffe
	s_delay_alu instid0(VALU_DEP_1) | instskip(SKIP_3) | instid1(VALU_DEP_2)
	v_lshlrev_b64_e32 v[20:21], s0, v[20:21]
	s_add_nc_u64 s[0:1], s[0:1], 8
	s_wait_alu 0xfffe
	v_cmp_eq_u32_e32 vcc_lo, s0, v19
	v_or_b32_e32 v12, v21, v12
	s_delay_alu instid0(VALU_DEP_3)
	v_or_b32_e32 v11, v20, v11
	s_or_b32 s10, vcc_lo, s10
	s_wait_alu 0xfffe
	s_and_not1_b32 exec_lo, exec_lo, s10
	s_cbranch_execnz .LBB1_34
; %bb.35:                               ;   in Loop: Header=BB1_31 Depth=1
	s_or_b32 exec_lo, exec_lo, s10
.LBB1_36:                               ;   in Loop: Header=BB1_31 Depth=1
	s_wait_alu 0xfffe
	s_or_b32 exec_lo, exec_lo, s5
	v_mov_b32_e32 v21, v52
.LBB1_37:                               ;   in Loop: Header=BB1_31 Depth=1
	s_wait_alu 0xfffe
	s_or_saveexec_b32 s0, s4
	v_mov_b32_e32 v22, 0
	s_wait_alu 0xfffe
	s_xor_b32 exec_lo, exec_lo, s0
	s_cbranch_execz .LBB1_39
; %bb.38:                               ;   in Loop: Header=BB1_31 Depth=1
	scratch_load_b64 v[11:12], v52, off
	v_add_nc_u32_e32 v22, -8, v35
.LBB1_39:                               ;   in Loop: Header=BB1_31 Depth=1
	s_or_b32 exec_lo, exec_lo, s0
	v_add_nc_u32_e32 v15, 8, v21
                                        ; implicit-def: $vgpr19_vgpr20
	s_mov_b32 s0, exec_lo
	s_delay_alu instid0(VALU_DEP_2)
	v_cmpx_gt_u32_e32 8, v22
	s_wait_alu 0xfffe
	s_xor_b32 s4, exec_lo, s0
	s_cbranch_execz .LBB1_45
; %bb.40:                               ;   in Loop: Header=BB1_31 Depth=1
	v_mov_b32_e32 v19, 0
	v_mov_b32_e32 v20, 0
	s_mov_b32 s5, exec_lo
	v_cmpx_ne_u32_e32 0, v22
	s_cbranch_execz .LBB1_44
; %bb.41:                               ;   in Loop: Header=BB1_31 Depth=1
	v_mov_b32_e32 v19, 0
	v_mov_b32_e32 v20, 0
	s_mov_b64 s[0:1], 0
	s_mov_b32 s10, 0
	s_mov_b32 s11, 0
.LBB1_42:                               ;   Parent Loop BB1_31 Depth=1
                                        ; =>  This Inner Loop Header: Depth=2
	scratch_load_u8 v15, v21, s11
	v_mov_b32_e32 v24, s7
	s_wait_alu 0xfffe
	s_add_co_i32 s11, s11, 1
	s_wait_alu 0xfffe
	v_cmp_eq_u32_e32 vcc_lo, s11, v22
	s_or_b32 s10, vcc_lo, s10
	s_wait_loadcnt 0x0
	v_and_b32_e32 v23, 0xffff, v15
	s_delay_alu instid0(VALU_DEP_1) | instskip(SKIP_1) | instid1(VALU_DEP_1)
	v_lshlrev_b64_e32 v[23:24], s0, v[23:24]
	s_add_nc_u64 s[0:1], s[0:1], 8
	v_or_b32_e32 v20, v24, v20
	s_delay_alu instid0(VALU_DEP_2)
	v_or_b32_e32 v19, v23, v19
	s_wait_alu 0xfffe
	s_and_not1_b32 exec_lo, exec_lo, s10
	s_cbranch_execnz .LBB1_42
; %bb.43:                               ;   in Loop: Header=BB1_31 Depth=1
	s_or_b32 exec_lo, exec_lo, s10
.LBB1_44:                               ;   in Loop: Header=BB1_31 Depth=1
	s_wait_alu 0xfffe
	s_or_b32 exec_lo, exec_lo, s5
	v_mov_b32_e32 v15, v21
                                        ; implicit-def: $vgpr22
.LBB1_45:                               ;   in Loop: Header=BB1_31 Depth=1
	s_wait_alu 0xfffe
	s_or_saveexec_b32 s0, s4
	v_mov_b32_e32 v23, 0
	s_wait_alu 0xfffe
	s_xor_b32 exec_lo, exec_lo, s0
	s_cbranch_execz .LBB1_47
; %bb.46:                               ;   in Loop: Header=BB1_31 Depth=1
	scratch_load_b64 v[19:20], v21, off
	v_add_nc_u32_e32 v23, -8, v22
.LBB1_47:                               ;   in Loop: Header=BB1_31 Depth=1
	s_or_b32 exec_lo, exec_lo, s0
	v_add_nc_u32_e32 v25, 8, v15
	s_mov_b32 s0, exec_lo
	s_delay_alu instid0(VALU_DEP_2)
	v_cmpx_gt_u32_e32 8, v23
	s_wait_alu 0xfffe
	s_xor_b32 s4, exec_lo, s0
	s_cbranch_execz .LBB1_53
; %bb.48:                               ;   in Loop: Header=BB1_31 Depth=1
	v_mov_b32_e32 v21, 0
	v_mov_b32_e32 v22, 0
	s_mov_b32 s5, exec_lo
	v_cmpx_ne_u32_e32 0, v23
	s_cbranch_execz .LBB1_52
; %bb.49:                               ;   in Loop: Header=BB1_31 Depth=1
	v_mov_b32_e32 v21, 0
	v_mov_b32_e32 v22, 0
	s_mov_b64 s[0:1], 0
	s_mov_b32 s10, 0
	s_mov_b32 s11, 0
.LBB1_50:                               ;   Parent Loop BB1_31 Depth=1
                                        ; =>  This Inner Loop Header: Depth=2
	scratch_load_u8 v24, v15, s11
	v_mov_b32_e32 v25, s7
	s_wait_alu 0xfffe
	s_add_co_i32 s11, s11, 1
	s_wait_alu 0xfffe
	v_cmp_eq_u32_e32 vcc_lo, s11, v23
	s_or_b32 s10, vcc_lo, s10
	s_wait_loadcnt 0x0
	v_and_b32_e32 v24, 0xffff, v24
	s_delay_alu instid0(VALU_DEP_1) | instskip(SKIP_1) | instid1(VALU_DEP_1)
	v_lshlrev_b64_e32 v[24:25], s0, v[24:25]
	s_add_nc_u64 s[0:1], s[0:1], 8
	v_or_b32_e32 v22, v25, v22
	s_delay_alu instid0(VALU_DEP_2)
	v_or_b32_e32 v21, v24, v21
	s_wait_alu 0xfffe
	s_and_not1_b32 exec_lo, exec_lo, s10
	s_cbranch_execnz .LBB1_50
; %bb.51:                               ;   in Loop: Header=BB1_31 Depth=1
	s_or_b32 exec_lo, exec_lo, s10
.LBB1_52:                               ;   in Loop: Header=BB1_31 Depth=1
	s_wait_alu 0xfffe
	s_or_b32 exec_lo, exec_lo, s5
	v_mov_b32_e32 v25, v15
                                        ; implicit-def: $vgpr23
.LBB1_53:                               ;   in Loop: Header=BB1_31 Depth=1
	s_wait_alu 0xfffe
	s_or_saveexec_b32 s0, s4
	v_mov_b32_e32 v26, 0
	s_wait_alu 0xfffe
	s_xor_b32 exec_lo, exec_lo, s0
	s_cbranch_execz .LBB1_55
; %bb.54:                               ;   in Loop: Header=BB1_31 Depth=1
	scratch_load_b64 v[21:22], v15, off
	v_add_nc_u32_e32 v26, -8, v23
.LBB1_55:                               ;   in Loop: Header=BB1_31 Depth=1
	s_or_b32 exec_lo, exec_lo, s0
	v_add_nc_u32_e32 v15, 8, v25
                                        ; implicit-def: $vgpr23_vgpr24
	s_mov_b32 s0, exec_lo
	s_delay_alu instid0(VALU_DEP_2)
	v_cmpx_gt_u32_e32 8, v26
	s_wait_alu 0xfffe
	s_xor_b32 s4, exec_lo, s0
	s_cbranch_execz .LBB1_61
; %bb.56:                               ;   in Loop: Header=BB1_31 Depth=1
	v_mov_b32_e32 v23, 0
	v_mov_b32_e32 v24, 0
	s_mov_b32 s5, exec_lo
	v_cmpx_ne_u32_e32 0, v26
	s_cbranch_execz .LBB1_60
; %bb.57:                               ;   in Loop: Header=BB1_31 Depth=1
	v_mov_b32_e32 v23, 0
	v_mov_b32_e32 v24, 0
	s_mov_b64 s[0:1], 0
	s_mov_b32 s10, 0
	s_mov_b32 s11, 0
.LBB1_58:                               ;   Parent Loop BB1_31 Depth=1
                                        ; =>  This Inner Loop Header: Depth=2
	scratch_load_u8 v15, v25, s11
	v_mov_b32_e32 v28, s7
	s_wait_alu 0xfffe
	s_add_co_i32 s11, s11, 1
	s_wait_alu 0xfffe
	v_cmp_eq_u32_e32 vcc_lo, s11, v26
	s_or_b32 s10, vcc_lo, s10
	s_wait_loadcnt 0x0
	v_and_b32_e32 v27, 0xffff, v15
	s_delay_alu instid0(VALU_DEP_1) | instskip(SKIP_1) | instid1(VALU_DEP_1)
	v_lshlrev_b64_e32 v[27:28], s0, v[27:28]
	s_add_nc_u64 s[0:1], s[0:1], 8
	v_or_b32_e32 v24, v28, v24
	s_delay_alu instid0(VALU_DEP_2)
	v_or_b32_e32 v23, v27, v23
	s_wait_alu 0xfffe
	s_and_not1_b32 exec_lo, exec_lo, s10
	s_cbranch_execnz .LBB1_58
; %bb.59:                               ;   in Loop: Header=BB1_31 Depth=1
	s_or_b32 exec_lo, exec_lo, s10
.LBB1_60:                               ;   in Loop: Header=BB1_31 Depth=1
	s_wait_alu 0xfffe
	s_or_b32 exec_lo, exec_lo, s5
	v_mov_b32_e32 v15, v25
                                        ; implicit-def: $vgpr26
.LBB1_61:                               ;   in Loop: Header=BB1_31 Depth=1
	s_wait_alu 0xfffe
	s_or_saveexec_b32 s0, s4
	v_mov_b32_e32 v27, 0
	s_wait_alu 0xfffe
	s_xor_b32 exec_lo, exec_lo, s0
	s_cbranch_execz .LBB1_63
; %bb.62:                               ;   in Loop: Header=BB1_31 Depth=1
	scratch_load_b64 v[23:24], v25, off
	v_add_nc_u32_e32 v27, -8, v26
.LBB1_63:                               ;   in Loop: Header=BB1_31 Depth=1
	s_or_b32 exec_lo, exec_lo, s0
	v_add_nc_u32_e32 v29, 8, v15
	s_mov_b32 s0, exec_lo
	s_delay_alu instid0(VALU_DEP_2)
	v_cmpx_gt_u32_e32 8, v27
	s_wait_alu 0xfffe
	s_xor_b32 s4, exec_lo, s0
	s_cbranch_execz .LBB1_69
; %bb.64:                               ;   in Loop: Header=BB1_31 Depth=1
	v_mov_b32_e32 v25, 0
	v_mov_b32_e32 v26, 0
	s_mov_b32 s5, exec_lo
	v_cmpx_ne_u32_e32 0, v27
	s_cbranch_execz .LBB1_68
; %bb.65:                               ;   in Loop: Header=BB1_31 Depth=1
	v_mov_b32_e32 v25, 0
	v_mov_b32_e32 v26, 0
	s_mov_b64 s[0:1], 0
	s_mov_b32 s10, 0
	s_mov_b32 s11, 0
.LBB1_66:                               ;   Parent Loop BB1_31 Depth=1
                                        ; =>  This Inner Loop Header: Depth=2
	scratch_load_u8 v28, v15, s11
	v_mov_b32_e32 v29, s7
	s_wait_alu 0xfffe
	s_add_co_i32 s11, s11, 1
	s_wait_alu 0xfffe
	v_cmp_eq_u32_e32 vcc_lo, s11, v27
	s_or_b32 s10, vcc_lo, s10
	s_wait_loadcnt 0x0
	v_and_b32_e32 v28, 0xffff, v28
	s_delay_alu instid0(VALU_DEP_1) | instskip(SKIP_1) | instid1(VALU_DEP_1)
	v_lshlrev_b64_e32 v[28:29], s0, v[28:29]
	s_add_nc_u64 s[0:1], s[0:1], 8
	v_or_b32_e32 v26, v29, v26
	s_delay_alu instid0(VALU_DEP_2)
	v_or_b32_e32 v25, v28, v25
	s_wait_alu 0xfffe
	s_and_not1_b32 exec_lo, exec_lo, s10
	s_cbranch_execnz .LBB1_66
; %bb.67:                               ;   in Loop: Header=BB1_31 Depth=1
	s_or_b32 exec_lo, exec_lo, s10
.LBB1_68:                               ;   in Loop: Header=BB1_31 Depth=1
	s_wait_alu 0xfffe
	s_or_b32 exec_lo, exec_lo, s5
	v_mov_b32_e32 v29, v15
                                        ; implicit-def: $vgpr27
.LBB1_69:                               ;   in Loop: Header=BB1_31 Depth=1
	s_wait_alu 0xfffe
	s_or_saveexec_b32 s0, s4
	v_mov_b32_e32 v30, 0
	s_wait_alu 0xfffe
	s_xor_b32 exec_lo, exec_lo, s0
	s_cbranch_execz .LBB1_71
; %bb.70:                               ;   in Loop: Header=BB1_31 Depth=1
	scratch_load_b64 v[25:26], v15, off
	v_add_nc_u32_e32 v30, -8, v27
.LBB1_71:                               ;   in Loop: Header=BB1_31 Depth=1
	s_or_b32 exec_lo, exec_lo, s0
	v_add_nc_u32_e32 v15, 8, v29
                                        ; implicit-def: $vgpr27_vgpr28
	s_mov_b32 s0, exec_lo
	s_delay_alu instid0(VALU_DEP_2)
	v_cmpx_gt_u32_e32 8, v30
	s_wait_alu 0xfffe
	s_xor_b32 s4, exec_lo, s0
	s_cbranch_execz .LBB1_77
; %bb.72:                               ;   in Loop: Header=BB1_31 Depth=1
	v_mov_b32_e32 v27, 0
	v_mov_b32_e32 v28, 0
	s_mov_b32 s5, exec_lo
	v_cmpx_ne_u32_e32 0, v30
	s_cbranch_execz .LBB1_76
; %bb.73:                               ;   in Loop: Header=BB1_31 Depth=1
	v_mov_b32_e32 v27, 0
	v_mov_b32_e32 v28, 0
	s_mov_b64 s[0:1], 0
	s_mov_b32 s10, 0
	s_mov_b32 s11, 0
.LBB1_74:                               ;   Parent Loop BB1_31 Depth=1
                                        ; =>  This Inner Loop Header: Depth=2
	scratch_load_u8 v15, v29, s11
	v_mov_b32_e32 v32, s7
	s_wait_alu 0xfffe
	s_add_co_i32 s11, s11, 1
	s_wait_alu 0xfffe
	v_cmp_eq_u32_e32 vcc_lo, s11, v30
	s_or_b32 s10, vcc_lo, s10
	s_wait_loadcnt 0x0
	v_and_b32_e32 v31, 0xffff, v15
	s_delay_alu instid0(VALU_DEP_1) | instskip(SKIP_1) | instid1(VALU_DEP_1)
	v_lshlrev_b64_e32 v[31:32], s0, v[31:32]
	s_add_nc_u64 s[0:1], s[0:1], 8
	v_or_b32_e32 v28, v32, v28
	s_delay_alu instid0(VALU_DEP_2)
	v_or_b32_e32 v27, v31, v27
	s_wait_alu 0xfffe
	s_and_not1_b32 exec_lo, exec_lo, s10
	s_cbranch_execnz .LBB1_74
; %bb.75:                               ;   in Loop: Header=BB1_31 Depth=1
	s_or_b32 exec_lo, exec_lo, s10
.LBB1_76:                               ;   in Loop: Header=BB1_31 Depth=1
	s_wait_alu 0xfffe
	s_or_b32 exec_lo, exec_lo, s5
	v_mov_b32_e32 v15, v29
                                        ; implicit-def: $vgpr30
.LBB1_77:                               ;   in Loop: Header=BB1_31 Depth=1
	s_wait_alu 0xfffe
	s_or_saveexec_b32 s0, s4
	v_mov_b32_e32 v31, 0
	s_wait_alu 0xfffe
	s_xor_b32 exec_lo, exec_lo, s0
	s_cbranch_execz .LBB1_79
; %bb.78:                               ;   in Loop: Header=BB1_31 Depth=1
	scratch_load_b64 v[27:28], v29, off
	v_add_nc_u32_e32 v31, -8, v30
.LBB1_79:                               ;   in Loop: Header=BB1_31 Depth=1
	s_or_b32 exec_lo, exec_lo, s0
	s_delay_alu instid0(SALU_CYCLE_1) | instskip(NEXT) | instid1(VALU_DEP_1)
	s_mov_b32 s0, exec_lo
	v_cmpx_gt_u32_e32 8, v31
	s_wait_alu 0xfffe
	s_xor_b32 s4, exec_lo, s0
	s_cbranch_execz .LBB1_85
; %bb.80:                               ;   in Loop: Header=BB1_31 Depth=1
	v_mov_b32_e32 v29, 0
	v_mov_b32_e32 v30, 0
	s_mov_b32 s5, exec_lo
	v_cmpx_ne_u32_e32 0, v31
	s_cbranch_execz .LBB1_84
; %bb.81:                               ;   in Loop: Header=BB1_31 Depth=1
	v_mov_b32_e32 v29, 0
	v_mov_b32_e32 v30, 0
	s_mov_b64 s[0:1], 0
	s_mov_b32 s10, 0
.LBB1_82:                               ;   Parent Loop BB1_31 Depth=1
                                        ; =>  This Inner Loop Header: Depth=2
	scratch_load_u8 v32, v15, off
	v_mov_b32_e32 v33, s7
	v_add_nc_u32_e32 v31, -1, v31
	v_add_nc_u32_e32 v15, 1, v15
	s_delay_alu instid0(VALU_DEP_2) | instskip(SKIP_4) | instid1(VALU_DEP_1)
	v_cmp_eq_u32_e32 vcc_lo, 0, v31
	s_wait_alu 0xfffe
	s_or_b32 s10, vcc_lo, s10
	s_wait_loadcnt 0x0
	v_and_b32_e32 v32, 0xffff, v32
	v_lshlrev_b64_e32 v[32:33], s0, v[32:33]
	s_add_nc_u64 s[0:1], s[0:1], 8
	s_delay_alu instid0(VALU_DEP_1) | instskip(NEXT) | instid1(VALU_DEP_2)
	v_or_b32_e32 v30, v33, v30
	v_or_b32_e32 v29, v32, v29
	s_wait_alu 0xfffe
	s_and_not1_b32 exec_lo, exec_lo, s10
	s_cbranch_execnz .LBB1_82
; %bb.83:                               ;   in Loop: Header=BB1_31 Depth=1
	s_or_b32 exec_lo, exec_lo, s10
.LBB1_84:                               ;   in Loop: Header=BB1_31 Depth=1
	s_wait_alu 0xfffe
	s_or_b32 exec_lo, exec_lo, s5
                                        ; implicit-def: $vgpr15
.LBB1_85:                               ;   in Loop: Header=BB1_31 Depth=1
	s_wait_alu 0xfffe
	s_and_not1_saveexec_b32 s0, s4
	s_cbranch_execz .LBB1_87
; %bb.86:                               ;   in Loop: Header=BB1_31 Depth=1
	scratch_load_b64 v[29:30], v15, off
.LBB1_87:                               ;   in Loop: Header=BB1_31 Depth=1
	s_wait_alu 0xfffe
	s_or_b32 exec_lo, exec_lo, s0
	v_readfirstlane_b32 s0, v50
	v_mov_b32_e32 v37, 0
	v_mov_b32_e32 v38, 0
	s_wait_alu 0xf1ff
	s_delay_alu instid0(VALU_DEP_3)
	v_cmp_eq_u32_e64 s0, s0, v50
	s_and_saveexec_b32 s1, s0
	s_cbranch_execz .LBB1_93
; %bb.88:                               ;   in Loop: Header=BB1_31 Depth=1
	global_load_b64 v[33:34], v16, s[2:3] offset:24 scope:SCOPE_SYS
	s_wait_loadcnt 0x0
	global_inv scope:SCOPE_SYS
	s_clause 0x1
	global_load_b64 v[31:32], v16, s[2:3] offset:40
	global_load_b64 v[37:38], v16, s[2:3]
	s_mov_b32 s4, exec_lo
	s_wait_loadcnt 0x1
	v_and_b32_e32 v15, v32, v34
	v_and_b32_e32 v31, v31, v33
	s_delay_alu instid0(VALU_DEP_2) | instskip(NEXT) | instid1(VALU_DEP_2)
	v_mul_lo_u32 v15, 24, v15
	v_mul_lo_u32 v32, 0, v31
	v_mul_hi_u32 v48, 24, v31
	v_mul_lo_u32 v31, 24, v31
	s_delay_alu instid0(VALU_DEP_3) | instskip(SKIP_1) | instid1(VALU_DEP_2)
	v_add_nc_u32_e32 v15, v15, v32
	s_wait_loadcnt 0x0
	v_add_co_u32 v31, vcc_lo, v37, v31
	s_delay_alu instid0(VALU_DEP_2) | instskip(SKIP_1) | instid1(VALU_DEP_1)
	v_add_nc_u32_e32 v15, v15, v48
	s_wait_alu 0xfffd
	v_add_co_ci_u32_e64 v32, null, v38, v15, vcc_lo
	global_load_b64 v[31:32], v[31:32], off scope:SCOPE_SYS
	s_wait_loadcnt 0x0
	global_atomic_cmpswap_b64 v[37:38], v16, v[31:34], s[2:3] offset:24 th:TH_ATOMIC_RETURN scope:SCOPE_SYS
	s_wait_loadcnt 0x0
	global_inv scope:SCOPE_SYS
	v_cmpx_ne_u64_e64 v[37:38], v[33:34]
	s_cbranch_execz .LBB1_92
; %bb.89:                               ;   in Loop: Header=BB1_31 Depth=1
	s_mov_b32 s5, 0
.LBB1_90:                               ;   Parent Loop BB1_31 Depth=1
                                        ; =>  This Inner Loop Header: Depth=2
	s_sleep 1
	s_clause 0x1
	global_load_b64 v[31:32], v16, s[2:3] offset:40
	global_load_b64 v[48:49], v16, s[2:3]
	v_dual_mov_b32 v33, v37 :: v_dual_mov_b32 v34, v38
	s_wait_loadcnt 0x1
	s_delay_alu instid0(VALU_DEP_1) | instskip(NEXT) | instid1(VALU_DEP_2)
	v_and_b32_e32 v15, v31, v33
	v_and_b32_e32 v31, v32, v34
	s_wait_loadcnt 0x0
	s_delay_alu instid0(VALU_DEP_2) | instskip(NEXT) | instid1(VALU_DEP_1)
	v_mad_co_u64_u32 v[37:38], null, v15, 24, v[48:49]
	v_mov_b32_e32 v15, v38
	s_delay_alu instid0(VALU_DEP_1) | instskip(NEXT) | instid1(VALU_DEP_1)
	v_mad_co_u64_u32 v[31:32], null, v31, 24, v[15:16]
	v_mov_b32_e32 v38, v31
	global_load_b64 v[31:32], v[37:38], off scope:SCOPE_SYS
	s_wait_loadcnt 0x0
	global_atomic_cmpswap_b64 v[37:38], v16, v[31:34], s[2:3] offset:24 th:TH_ATOMIC_RETURN scope:SCOPE_SYS
	s_wait_loadcnt 0x0
	global_inv scope:SCOPE_SYS
	v_cmp_eq_u64_e32 vcc_lo, v[37:38], v[33:34]
	s_wait_alu 0xfffe
	s_or_b32 s5, vcc_lo, s5
	s_wait_alu 0xfffe
	s_and_not1_b32 exec_lo, exec_lo, s5
	s_cbranch_execnz .LBB1_90
; %bb.91:                               ;   in Loop: Header=BB1_31 Depth=1
	s_or_b32 exec_lo, exec_lo, s5
.LBB1_92:                               ;   in Loop: Header=BB1_31 Depth=1
	s_wait_alu 0xfffe
	s_or_b32 exec_lo, exec_lo, s4
.LBB1_93:                               ;   in Loop: Header=BB1_31 Depth=1
	s_wait_alu 0xfffe
	s_or_b32 exec_lo, exec_lo, s1
	s_clause 0x1
	global_load_b64 v[48:49], v16, s[2:3] offset:40
	global_load_b128 v[31:34], v16, s[2:3]
	v_readfirstlane_b32 s5, v38
	v_readfirstlane_b32 s4, v37
	s_mov_b32 s1, exec_lo
	s_wait_loadcnt 0x1
	s_wait_alu 0xf1ff
	v_and_b32_e32 v49, s5, v49
	v_and_b32_e32 v48, s4, v48
	s_delay_alu instid0(VALU_DEP_2) | instskip(NEXT) | instid1(VALU_DEP_2)
	v_mul_lo_u32 v15, 24, v49
	v_mul_lo_u32 v37, 0, v48
	v_mul_hi_u32 v38, 24, v48
	v_mul_lo_u32 v53, 24, v48
	s_delay_alu instid0(VALU_DEP_3) | instskip(SKIP_1) | instid1(VALU_DEP_2)
	v_add_nc_u32_e32 v15, v15, v37
	s_wait_loadcnt 0x0
	v_add_co_u32 v37, vcc_lo, v31, v53
	s_delay_alu instid0(VALU_DEP_2) | instskip(SKIP_1) | instid1(VALU_DEP_1)
	v_add_nc_u32_e32 v15, v15, v38
	s_wait_alu 0xfffd
	v_add_co_ci_u32_e64 v38, null, v32, v15, vcc_lo
	s_and_saveexec_b32 s10, s0
	s_cbranch_execz .LBB1_95
; %bb.94:                               ;   in Loop: Header=BB1_31 Depth=1
	s_wait_alu 0xfffe
	v_mov_b32_e32 v15, s1
	global_store_b128 v[37:38], v[15:18], off offset:8
.LBB1_95:                               ;   in Loop: Header=BB1_31 Depth=1
	s_wait_alu 0xfffe
	s_or_b32 exec_lo, exec_lo, s10
	v_cmp_gt_u64_e32 vcc_lo, 57, v[0:1]
	v_lshlrev_b64_e32 v[48:49], 12, v[48:49]
	v_and_b32_e32 v9, 0xffffff1f, v9
	v_lshl_add_u32 v53, v35, 2, 28
	s_wait_alu 0xfffd
	v_cndmask_b32_e32 v15, 0, v51, vcc_lo
	s_delay_alu instid0(VALU_DEP_4) | instskip(SKIP_2) | instid1(VALU_DEP_3)
	v_add_co_u32 v33, vcc_lo, v33, v48
	s_wait_alu 0xfffd
	v_add_co_ci_u32_e64 v34, null, v34, v49, vcc_lo
	v_or_b32_e32 v9, v9, v15
	s_delay_alu instid0(VALU_DEP_3) | instskip(NEXT) | instid1(VALU_DEP_3)
	v_readfirstlane_b32 s10, v33
	v_readfirstlane_b32 s11, v34
	s_delay_alu instid0(VALU_DEP_3)
	v_and_or_b32 v9, 0x1e0, v53, v9
	s_clause 0x3
	global_store_b128 v39, v[9:12], s[10:11]
	global_store_b128 v39, v[19:22], s[10:11] offset:16
	global_store_b128 v39, v[23:26], s[10:11] offset:32
	;; [unrolled: 1-line block ×3, first 2 shown]
	s_and_saveexec_b32 s1, s0
	s_cbranch_execz .LBB1_103
; %bb.96:                               ;   in Loop: Header=BB1_31 Depth=1
	s_clause 0x1
	global_load_b64 v[23:24], v16, s[2:3] offset:32 scope:SCOPE_SYS
	global_load_b64 v[9:10], v16, s[2:3] offset:40
	s_mov_b32 s10, exec_lo
	v_dual_mov_b32 v21, s4 :: v_dual_mov_b32 v22, s5
	s_wait_loadcnt 0x0
	v_and_b32_e32 v9, s4, v9
	v_and_b32_e32 v10, s5, v10
	s_delay_alu instid0(VALU_DEP_2) | instskip(NEXT) | instid1(VALU_DEP_2)
	v_mul_lo_u32 v11, 0, v9
	v_mul_lo_u32 v10, 24, v10
	v_mul_hi_u32 v12, 24, v9
	v_mul_lo_u32 v9, 24, v9
	s_delay_alu instid0(VALU_DEP_3) | instskip(NEXT) | instid1(VALU_DEP_2)
	v_add_nc_u32_e32 v10, v10, v11
	v_add_co_u32 v19, vcc_lo, v31, v9
	s_delay_alu instid0(VALU_DEP_2) | instskip(SKIP_1) | instid1(VALU_DEP_1)
	v_add_nc_u32_e32 v10, v10, v12
	s_wait_alu 0xfffd
	v_add_co_ci_u32_e64 v20, null, v32, v10, vcc_lo
	global_store_b64 v[19:20], v[23:24], off
	global_wb scope:SCOPE_SYS
	s_wait_storecnt 0x0
	global_atomic_cmpswap_b64 v[11:12], v16, v[21:24], s[2:3] offset:32 th:TH_ATOMIC_RETURN scope:SCOPE_SYS
	s_wait_loadcnt 0x0
	v_cmpx_ne_u64_e64 v[11:12], v[23:24]
	s_cbranch_execz .LBB1_99
; %bb.97:                               ;   in Loop: Header=BB1_31 Depth=1
	s_mov_b32 s11, 0
.LBB1_98:                               ;   Parent Loop BB1_31 Depth=1
                                        ; =>  This Inner Loop Header: Depth=2
	v_dual_mov_b32 v9, s4 :: v_dual_mov_b32 v10, s5
	s_sleep 1
	global_store_b64 v[19:20], v[11:12], off
	global_wb scope:SCOPE_SYS
	s_wait_storecnt 0x0
	global_atomic_cmpswap_b64 v[9:10], v16, v[9:12], s[2:3] offset:32 th:TH_ATOMIC_RETURN scope:SCOPE_SYS
	s_wait_loadcnt 0x0
	v_cmp_eq_u64_e32 vcc_lo, v[9:10], v[11:12]
	v_dual_mov_b32 v12, v10 :: v_dual_mov_b32 v11, v9
	s_wait_alu 0xfffe
	s_or_b32 s11, vcc_lo, s11
	s_wait_alu 0xfffe
	s_and_not1_b32 exec_lo, exec_lo, s11
	s_cbranch_execnz .LBB1_98
.LBB1_99:                               ;   in Loop: Header=BB1_31 Depth=1
	s_wait_alu 0xfffe
	s_or_b32 exec_lo, exec_lo, s10
	global_load_b64 v[9:10], v16, s[2:3] offset:16
	s_mov_b32 s11, exec_lo
	s_mov_b32 s10, exec_lo
	s_wait_alu 0xfffe
	v_mbcnt_lo_u32_b32 v11, s11, 0
	s_delay_alu instid0(VALU_DEP_1)
	v_cmpx_eq_u32_e32 0, v11
	s_cbranch_execz .LBB1_101
; %bb.100:                              ;   in Loop: Header=BB1_31 Depth=1
	s_bcnt1_i32_b32 s11, s11
	s_wait_alu 0xfffe
	v_mov_b32_e32 v15, s11
	global_wb scope:SCOPE_SYS
	s_wait_loadcnt 0x0
	s_wait_storecnt 0x0
	global_atomic_add_u64 v[9:10], v[15:16], off offset:8 scope:SCOPE_SYS
.LBB1_101:                              ;   in Loop: Header=BB1_31 Depth=1
	s_or_b32 exec_lo, exec_lo, s10
	s_wait_loadcnt 0x0
	global_load_b64 v[11:12], v[9:10], off offset:16
	s_wait_loadcnt 0x0
	v_cmp_eq_u64_e32 vcc_lo, 0, v[11:12]
	s_cbranch_vccnz .LBB1_103
; %bb.102:                              ;   in Loop: Header=BB1_31 Depth=1
	global_load_b32 v15, v[9:10], off offset:24
	s_wait_loadcnt 0x0
	v_readfirstlane_b32 s10, v15
	global_wb scope:SCOPE_SYS
	s_wait_storecnt 0x0
	global_store_b64 v[11:12], v[15:16], off scope:SCOPE_SYS
	s_and_b32 m0, s10, 0xffffff
	s_sendmsg sendmsg(MSG_INTERRUPT)
.LBB1_103:                              ;   in Loop: Header=BB1_31 Depth=1
	s_wait_alu 0xfffe
	s_or_b32 exec_lo, exec_lo, s1
	v_add_co_u32 v9, vcc_lo, v33, v39
	s_wait_alu 0xfffd
	v_add_co_ci_u32_e64 v10, null, 0, v34, vcc_lo
	s_branch .LBB1_107
.LBB1_104:                              ;   in Loop: Header=BB1_107 Depth=2
	s_wait_alu 0xfffe
	s_or_b32 exec_lo, exec_lo, s1
	s_delay_alu instid0(VALU_DEP_1)
	v_readfirstlane_b32 s1, v11
	s_cmp_eq_u32 s1, 0
	s_cbranch_scc1 .LBB1_106
; %bb.105:                              ;   in Loop: Header=BB1_107 Depth=2
	s_sleep 1
	s_cbranch_execnz .LBB1_107
	s_branch .LBB1_109
.LBB1_106:                              ;   in Loop: Header=BB1_31 Depth=1
	s_branch .LBB1_109
.LBB1_107:                              ;   Parent Loop BB1_31 Depth=1
                                        ; =>  This Inner Loop Header: Depth=2
	v_mov_b32_e32 v11, 1
	s_and_saveexec_b32 s1, s0
	s_cbranch_execz .LBB1_104
; %bb.108:                              ;   in Loop: Header=BB1_107 Depth=2
	global_load_b32 v11, v[37:38], off offset:20 scope:SCOPE_SYS
	s_wait_loadcnt 0x0
	global_inv scope:SCOPE_SYS
	v_and_b32_e32 v11, 1, v11
	s_branch .LBB1_104
.LBB1_109:                              ;   in Loop: Header=BB1_31 Depth=1
	global_load_b64 v[9:10], v[9:10], off
	s_and_saveexec_b32 s10, s0
	s_cbranch_execz .LBB1_30
; %bb.110:                              ;   in Loop: Header=BB1_31 Depth=1
	s_clause 0x2
	global_load_b64 v[11:12], v16, s[2:3] offset:40
	global_load_b64 v[23:24], v16, s[2:3] offset:24 scope:SCOPE_SYS
	global_load_b64 v[19:20], v16, s[2:3]
	s_wait_loadcnt 0x2
	v_readfirstlane_b32 s12, v11
	v_readfirstlane_b32 s13, v12
	s_add_nc_u64 s[0:1], s[12:13], 1
	s_wait_alu 0xfffe
	s_add_nc_u64 s[4:5], s[0:1], s[4:5]
	s_wait_alu 0xfffe
	s_cmp_eq_u64 s[4:5], 0
	s_cselect_b32 s1, s1, s5
	s_cselect_b32 s0, s0, s4
	s_wait_alu 0xfffe
	v_dual_mov_b32 v22, s1 :: v_dual_mov_b32 v21, s0
	s_and_b64 s[4:5], s[0:1], s[12:13]
	s_wait_alu 0xfffe
	s_mul_u64 s[4:5], s[4:5], 24
	s_wait_loadcnt 0x0
	s_wait_alu 0xfffe
	v_add_co_u32 v11, vcc_lo, v19, s4
	s_wait_alu 0xfffd
	v_add_co_ci_u32_e64 v12, null, s5, v20, vcc_lo
	global_store_b64 v[11:12], v[23:24], off
	global_wb scope:SCOPE_SYS
	s_wait_storecnt 0x0
	global_atomic_cmpswap_b64 v[21:22], v16, v[21:24], s[2:3] offset:24 th:TH_ATOMIC_RETURN scope:SCOPE_SYS
	s_wait_loadcnt 0x0
	v_cmp_ne_u64_e32 vcc_lo, v[21:22], v[23:24]
	s_and_b32 exec_lo, exec_lo, vcc_lo
	s_cbranch_execz .LBB1_30
; %bb.111:                              ;   in Loop: Header=BB1_31 Depth=1
	s_mov_b32 s4, 0
.LBB1_112:                              ;   Parent Loop BB1_31 Depth=1
                                        ; =>  This Inner Loop Header: Depth=2
	v_dual_mov_b32 v19, s0 :: v_dual_mov_b32 v20, s1
	s_sleep 1
	global_store_b64 v[11:12], v[21:22], off
	global_wb scope:SCOPE_SYS
	s_wait_storecnt 0x0
	global_atomic_cmpswap_b64 v[19:20], v16, v[19:22], s[2:3] offset:24 th:TH_ATOMIC_RETURN scope:SCOPE_SYS
	s_wait_loadcnt 0x0
	v_cmp_eq_u64_e32 vcc_lo, v[19:20], v[21:22]
	v_dual_mov_b32 v22, v20 :: v_dual_mov_b32 v21, v19
	s_wait_alu 0xfffe
	s_or_b32 s4, vcc_lo, s4
	s_wait_alu 0xfffe
	s_and_not1_b32 exec_lo, exec_lo, s4
	s_cbranch_execnz .LBB1_112
	s_branch .LBB1_30
.LBB1_113:
                                        ; implicit-def: $vgpr9_vgpr10
	s_cbranch_execnz .LBB1_115
	s_branch .LBB1_142
.LBB1_114:
	s_or_b32 exec_lo, exec_lo, s6
	s_branch .LBB1_142
.LBB1_115:
	v_readfirstlane_b32 s0, v50
	v_mov_b32_e32 v0, 0
	v_mov_b32_e32 v1, 0
	s_wait_alu 0xf1ff
	s_delay_alu instid0(VALU_DEP_3)
	v_cmp_eq_u32_e64 s0, s0, v50
	s_and_saveexec_b32 s1, s0
	s_cbranch_execz .LBB1_121
; %bb.116:
	s_wait_loadcnt 0x0
	v_mov_b32_e32 v9, 0
	s_mov_b32 s4, exec_lo
	global_load_b64 v[17:18], v9, s[2:3] offset:24 scope:SCOPE_SYS
	s_wait_loadcnt 0x0
	global_inv scope:SCOPE_SYS
	s_clause 0x1
	global_load_b64 v[0:1], v9, s[2:3] offset:40
	global_load_b64 v[10:11], v9, s[2:3]
	s_wait_loadcnt 0x1
	v_and_b32_e32 v1, v1, v18
	v_and_b32_e32 v0, v0, v17
	s_delay_alu instid0(VALU_DEP_2) | instskip(NEXT) | instid1(VALU_DEP_2)
	v_mul_lo_u32 v1, 24, v1
	v_mul_lo_u32 v12, 0, v0
	v_mul_hi_u32 v15, 24, v0
	v_mul_lo_u32 v0, 24, v0
	s_delay_alu instid0(VALU_DEP_3) | instskip(SKIP_1) | instid1(VALU_DEP_2)
	v_add_nc_u32_e32 v1, v1, v12
	s_wait_loadcnt 0x0
	v_add_co_u32 v0, vcc_lo, v10, v0
	s_delay_alu instid0(VALU_DEP_2) | instskip(SKIP_1) | instid1(VALU_DEP_1)
	v_add_nc_u32_e32 v1, v1, v15
	s_wait_alu 0xfffd
	v_add_co_ci_u32_e64 v1, null, v11, v1, vcc_lo
	global_load_b64 v[15:16], v[0:1], off scope:SCOPE_SYS
	s_wait_loadcnt 0x0
	global_atomic_cmpswap_b64 v[0:1], v9, v[15:18], s[2:3] offset:24 th:TH_ATOMIC_RETURN scope:SCOPE_SYS
	s_wait_loadcnt 0x0
	global_inv scope:SCOPE_SYS
	v_cmpx_ne_u64_e64 v[0:1], v[17:18]
	s_cbranch_execz .LBB1_120
; %bb.117:
	s_mov_b32 s5, 0
.LBB1_118:                              ; =>This Inner Loop Header: Depth=1
	s_sleep 1
	s_clause 0x1
	global_load_b64 v[10:11], v9, s[2:3] offset:40
	global_load_b64 v[15:16], v9, s[2:3]
	v_dual_mov_b32 v18, v1 :: v_dual_mov_b32 v17, v0
	s_wait_loadcnt 0x1
	s_delay_alu instid0(VALU_DEP_1) | instskip(NEXT) | instid1(VALU_DEP_2)
	v_and_b32_e32 v0, v10, v17
	v_and_b32_e32 v10, v11, v18
	s_wait_loadcnt 0x0
	s_delay_alu instid0(VALU_DEP_2) | instskip(NEXT) | instid1(VALU_DEP_1)
	v_mad_co_u64_u32 v[0:1], null, v0, 24, v[15:16]
	v_mad_co_u64_u32 v[10:11], null, v10, 24, v[1:2]
	s_delay_alu instid0(VALU_DEP_1)
	v_mov_b32_e32 v1, v10
	global_load_b64 v[15:16], v[0:1], off scope:SCOPE_SYS
	s_wait_loadcnt 0x0
	global_atomic_cmpswap_b64 v[0:1], v9, v[15:18], s[2:3] offset:24 th:TH_ATOMIC_RETURN scope:SCOPE_SYS
	s_wait_loadcnt 0x0
	global_inv scope:SCOPE_SYS
	v_cmp_eq_u64_e32 vcc_lo, v[0:1], v[17:18]
	s_wait_alu 0xfffe
	s_or_b32 s5, vcc_lo, s5
	s_wait_alu 0xfffe
	s_and_not1_b32 exec_lo, exec_lo, s5
	s_cbranch_execnz .LBB1_118
; %bb.119:
	s_or_b32 exec_lo, exec_lo, s5
.LBB1_120:
	s_wait_alu 0xfffe
	s_or_b32 exec_lo, exec_lo, s4
.LBB1_121:
	s_wait_alu 0xfffe
	s_or_b32 exec_lo, exec_lo, s1
	v_readfirstlane_b32 s4, v0
	v_mov_b32_e32 v15, 0
	v_readfirstlane_b32 s5, v1
	s_mov_b32 s1, exec_lo
	global_load_b64 v[16:17], v15, s[2:3] offset:40
	s_wait_loadcnt 0x1
	global_load_b128 v[9:12], v15, s[2:3]
	s_wait_loadcnt 0x1
	s_wait_alu 0xf1ff
	v_and_b32_e32 v17, s5, v17
	v_and_b32_e32 v16, s4, v16
	s_delay_alu instid0(VALU_DEP_2) | instskip(NEXT) | instid1(VALU_DEP_2)
	v_mul_lo_u32 v0, 24, v17
	v_mul_lo_u32 v1, 0, v16
	v_mul_hi_u32 v18, 24, v16
	v_mul_lo_u32 v19, 24, v16
	s_delay_alu instid0(VALU_DEP_3) | instskip(NEXT) | instid1(VALU_DEP_1)
	v_add_nc_u32_e32 v0, v0, v1
	v_add_nc_u32_e32 v1, v0, v18
	s_wait_loadcnt 0x0
	s_delay_alu instid0(VALU_DEP_3) | instskip(SKIP_1) | instid1(VALU_DEP_2)
	v_add_co_u32 v0, vcc_lo, v9, v19
	s_wait_alu 0xfffd
	v_add_co_ci_u32_e64 v1, null, v10, v1, vcc_lo
	s_and_saveexec_b32 s6, s0
	s_cbranch_execz .LBB1_123
; %bb.122:
	s_wait_alu 0xfffe
	v_dual_mov_b32 v18, s1 :: v_dual_mov_b32 v19, v15
	v_dual_mov_b32 v20, 2 :: v_dual_mov_b32 v21, 1
	global_store_b128 v[0:1], v[18:21], off offset:8
.LBB1_123:
	s_wait_alu 0xfffe
	s_or_b32 exec_lo, exec_lo, s6
	v_lshlrev_b64_e32 v[17:18], 12, v[16:17]
	s_mov_b32 s12, 0
	v_and_or_b32 v13, 0xffffff1f, v13, 32
	s_wait_alu 0xfffe
	s_mov_b32 s15, s12
	s_mov_b32 s13, s12
	;; [unrolled: 1-line block ×3, first 2 shown]
	v_add_co_u32 v11, vcc_lo, v11, v17
	s_wait_alu 0xfffd
	v_add_co_ci_u32_e64 v12, null, v12, v18, vcc_lo
	v_mov_b32_e32 v16, v15
	s_delay_alu instid0(VALU_DEP_3) | instskip(SKIP_1) | instid1(VALU_DEP_4)
	v_add_co_u32 v17, vcc_lo, v11, v39
	v_readfirstlane_b32 s6, v11
	v_readfirstlane_b32 s7, v12
	s_wait_alu 0xfffe
	v_dual_mov_b32 v22, s15 :: v_dual_mov_b32 v19, s12
	s_wait_alu 0xfffd
	v_add_co_ci_u32_e64 v18, null, 0, v12, vcc_lo
	v_dual_mov_b32 v21, s14 :: v_dual_mov_b32 v20, s13
	s_clause 0x3
	global_store_b128 v39, v[13:16], s[6:7]
	global_store_b128 v39, v[19:22], s[6:7] offset:16
	global_store_b128 v39, v[19:22], s[6:7] offset:32
	;; [unrolled: 1-line block ×3, first 2 shown]
	s_and_saveexec_b32 s1, s0
	s_cbranch_execz .LBB1_131
; %bb.124:
	v_mov_b32_e32 v15, 0
	s_mov_b32 s6, exec_lo
	s_clause 0x1
	global_load_b64 v[21:22], v15, s[2:3] offset:32 scope:SCOPE_SYS
	global_load_b64 v[11:12], v15, s[2:3] offset:40
	v_dual_mov_b32 v20, s5 :: v_dual_mov_b32 v19, s4
	s_wait_loadcnt 0x0
	v_and_b32_e32 v12, s5, v12
	v_and_b32_e32 v11, s4, v11
	s_delay_alu instid0(VALU_DEP_2) | instskip(NEXT) | instid1(VALU_DEP_2)
	v_mul_lo_u32 v12, 24, v12
	v_mul_lo_u32 v13, 0, v11
	v_mul_hi_u32 v14, 24, v11
	v_mul_lo_u32 v11, 24, v11
	s_delay_alu instid0(VALU_DEP_3) | instskip(NEXT) | instid1(VALU_DEP_2)
	v_add_nc_u32_e32 v12, v12, v13
	v_add_co_u32 v13, vcc_lo, v9, v11
	s_delay_alu instid0(VALU_DEP_2) | instskip(SKIP_1) | instid1(VALU_DEP_1)
	v_add_nc_u32_e32 v12, v12, v14
	s_wait_alu 0xfffd
	v_add_co_ci_u32_e64 v14, null, v10, v12, vcc_lo
	global_store_b64 v[13:14], v[21:22], off
	global_wb scope:SCOPE_SYS
	s_wait_storecnt 0x0
	global_atomic_cmpswap_b64 v[11:12], v15, v[19:22], s[2:3] offset:32 th:TH_ATOMIC_RETURN scope:SCOPE_SYS
	s_wait_loadcnt 0x0
	v_cmpx_ne_u64_e64 v[11:12], v[21:22]
	s_cbranch_execz .LBB1_127
; %bb.125:
	s_mov_b32 s7, 0
.LBB1_126:                              ; =>This Inner Loop Header: Depth=1
	v_dual_mov_b32 v9, s4 :: v_dual_mov_b32 v10, s5
	s_sleep 1
	global_store_b64 v[13:14], v[11:12], off
	global_wb scope:SCOPE_SYS
	s_wait_storecnt 0x0
	global_atomic_cmpswap_b64 v[9:10], v15, v[9:12], s[2:3] offset:32 th:TH_ATOMIC_RETURN scope:SCOPE_SYS
	s_wait_loadcnt 0x0
	v_cmp_eq_u64_e32 vcc_lo, v[9:10], v[11:12]
	v_dual_mov_b32 v12, v10 :: v_dual_mov_b32 v11, v9
	s_wait_alu 0xfffe
	s_or_b32 s7, vcc_lo, s7
	s_wait_alu 0xfffe
	s_and_not1_b32 exec_lo, exec_lo, s7
	s_cbranch_execnz .LBB1_126
.LBB1_127:
	s_wait_alu 0xfffe
	s_or_b32 exec_lo, exec_lo, s6
	v_mov_b32_e32 v12, 0
	s_mov_b32 s7, exec_lo
	s_mov_b32 s6, exec_lo
	s_wait_alu 0xfffe
	v_mbcnt_lo_u32_b32 v11, s7, 0
	global_load_b64 v[9:10], v12, s[2:3] offset:16
	v_cmpx_eq_u32_e32 0, v11
	s_cbranch_execz .LBB1_129
; %bb.128:
	s_bcnt1_i32_b32 s7, s7
	s_wait_alu 0xfffe
	v_mov_b32_e32 v11, s7
	global_wb scope:SCOPE_SYS
	s_wait_loadcnt 0x0
	s_wait_storecnt 0x0
	global_atomic_add_u64 v[9:10], v[11:12], off offset:8 scope:SCOPE_SYS
.LBB1_129:
	s_or_b32 exec_lo, exec_lo, s6
	s_wait_loadcnt 0x0
	global_load_b64 v[11:12], v[9:10], off offset:16
	s_wait_loadcnt 0x0
	v_cmp_eq_u64_e32 vcc_lo, 0, v[11:12]
	s_cbranch_vccnz .LBB1_131
; %bb.130:
	global_load_b32 v9, v[9:10], off offset:24
	v_mov_b32_e32 v10, 0
	s_wait_loadcnt 0x0
	v_readfirstlane_b32 s6, v9
	global_wb scope:SCOPE_SYS
	s_wait_storecnt 0x0
	global_store_b64 v[11:12], v[9:10], off scope:SCOPE_SYS
	s_and_b32 m0, s6, 0xffffff
	s_sendmsg sendmsg(MSG_INTERRUPT)
.LBB1_131:
	s_wait_alu 0xfffe
	s_or_b32 exec_lo, exec_lo, s1
	s_branch .LBB1_135
.LBB1_132:                              ;   in Loop: Header=BB1_135 Depth=1
	s_wait_alu 0xfffe
	s_or_b32 exec_lo, exec_lo, s1
	s_delay_alu instid0(VALU_DEP_1)
	v_readfirstlane_b32 s1, v9
	s_cmp_eq_u32 s1, 0
	s_cbranch_scc1 .LBB1_134
; %bb.133:                              ;   in Loop: Header=BB1_135 Depth=1
	s_sleep 1
	s_cbranch_execnz .LBB1_135
	s_branch .LBB1_137
.LBB1_134:
	s_branch .LBB1_137
.LBB1_135:                              ; =>This Inner Loop Header: Depth=1
	v_mov_b32_e32 v9, 1
	s_and_saveexec_b32 s1, s0
	s_cbranch_execz .LBB1_132
; %bb.136:                              ;   in Loop: Header=BB1_135 Depth=1
	global_load_b32 v9, v[0:1], off offset:20 scope:SCOPE_SYS
	s_wait_loadcnt 0x0
	global_inv scope:SCOPE_SYS
	v_and_b32_e32 v9, 1, v9
	s_branch .LBB1_132
.LBB1_137:
	global_load_b64 v[9:10], v[17:18], off
	s_and_saveexec_b32 s6, s0
	s_cbranch_execz .LBB1_141
; %bb.138:
	v_mov_b32_e32 v15, 0
	s_clause 0x2
	global_load_b64 v[0:1], v15, s[2:3] offset:40
	global_load_b64 v[18:19], v15, s[2:3] offset:24 scope:SCOPE_SYS
	global_load_b64 v[11:12], v15, s[2:3]
	s_wait_loadcnt 0x2
	v_readfirstlane_b32 s10, v0
	v_readfirstlane_b32 s11, v1
	s_add_nc_u64 s[0:1], s[10:11], 1
	s_wait_alu 0xfffe
	s_add_nc_u64 s[4:5], s[0:1], s[4:5]
	s_wait_alu 0xfffe
	s_cmp_eq_u64 s[4:5], 0
	s_cselect_b32 s1, s1, s5
	s_cselect_b32 s0, s0, s4
	s_wait_alu 0xfffe
	v_mov_b32_e32 v17, s1
	s_and_b64 s[4:5], s[0:1], s[10:11]
	v_mov_b32_e32 v16, s0
	s_wait_alu 0xfffe
	s_mul_u64 s[4:5], s[4:5], 24
	s_wait_loadcnt 0x0
	s_wait_alu 0xfffe
	v_add_co_u32 v0, vcc_lo, v11, s4
	s_wait_alu 0xfffd
	v_add_co_ci_u32_e64 v1, null, s5, v12, vcc_lo
	global_store_b64 v[0:1], v[18:19], off
	global_wb scope:SCOPE_SYS
	s_wait_storecnt 0x0
	global_atomic_cmpswap_b64 v[13:14], v15, v[16:19], s[2:3] offset:24 th:TH_ATOMIC_RETURN scope:SCOPE_SYS
	s_wait_loadcnt 0x0
	v_cmp_ne_u64_e32 vcc_lo, v[13:14], v[18:19]
	s_and_b32 exec_lo, exec_lo, vcc_lo
	s_cbranch_execz .LBB1_141
; %bb.139:
	s_mov_b32 s4, 0
.LBB1_140:                              ; =>This Inner Loop Header: Depth=1
	v_dual_mov_b32 v11, s0 :: v_dual_mov_b32 v12, s1
	s_sleep 1
	global_store_b64 v[0:1], v[13:14], off
	global_wb scope:SCOPE_SYS
	s_wait_storecnt 0x0
	global_atomic_cmpswap_b64 v[11:12], v15, v[11:14], s[2:3] offset:24 th:TH_ATOMIC_RETURN scope:SCOPE_SYS
	s_wait_loadcnt 0x0
	v_cmp_eq_u64_e32 vcc_lo, v[11:12], v[13:14]
	v_dual_mov_b32 v14, v12 :: v_dual_mov_b32 v13, v11
	s_wait_alu 0xfffe
	s_or_b32 s4, vcc_lo, s4
	s_wait_alu 0xfffe
	s_and_not1_b32 exec_lo, exec_lo, s4
	s_cbranch_execnz .LBB1_140
.LBB1_141:
	s_wait_alu 0xfffe
	s_or_b32 exec_lo, exec_lo, s6
.LBB1_142:
	v_dual_mov_b32 v12, v3 :: v_dual_mov_b32 v11, v2
	s_mov_b32 s0, 0
.LBB1_143:                              ; =>This Inner Loop Header: Depth=1
	global_load_u8 v13, v[11:12], off
	v_add_co_u32 v0, vcc_lo, v11, 1
	s_wait_alu 0xfffd
	v_add_co_ci_u32_e64 v1, null, 0, v12, vcc_lo
	s_delay_alu instid0(VALU_DEP_1)
	v_dual_mov_b32 v12, v1 :: v_dual_mov_b32 v11, v0
	s_wait_loadcnt 0x0
	v_cmp_eq_u16_e32 vcc_lo, 0, v13
	s_wait_alu 0xfffe
	s_or_b32 s0, vcc_lo, s0
	s_wait_alu 0xfffe
	s_and_not1_b32 exec_lo, exec_lo, s0
	s_cbranch_execnz .LBB1_143
; %bb.144:
	s_or_b32 exec_lo, exec_lo, s0
	s_delay_alu instid0(SALU_CYCLE_1)
	s_mov_b32 s0, exec_lo
	v_cmpx_ne_u64_e32 0, v[2:3]
	s_wait_alu 0xfffe
	s_xor_b32 s6, exec_lo, s0
	s_cbranch_execz .LBB1_230
; %bb.145:
	v_sub_nc_u32_e32 v0, v0, v2
	v_dual_mov_b32 v15, 2 :: v_dual_and_b32 v48, 2, v9
	v_dual_mov_b32 v14, 0 :: v_dual_and_b32 v9, -3, v9
	s_delay_alu instid0(VALU_DEP_3)
	v_ashrrev_i32_e32 v1, 31, v0
	v_mov_b32_e32 v16, 1
	s_mov_b32 s10, 0
	s_mov_b32 s7, 0
	s_branch .LBB1_147
.LBB1_146:                              ;   in Loop: Header=BB1_147 Depth=1
	s_wait_alu 0xfffe
	s_or_b32 exec_lo, exec_lo, s11
	v_sub_co_u32 v0, vcc_lo, v0, v33
	s_wait_alu 0xfffd
	v_sub_co_ci_u32_e64 v1, null, v1, v34, vcc_lo
	v_add_co_u32 v2, s0, v2, v33
	s_wait_alu 0xf1ff
	v_add_co_ci_u32_e64 v3, null, v3, v34, s0
	s_delay_alu instid0(VALU_DEP_3)
	v_cmp_eq_u64_e32 vcc_lo, 0, v[0:1]
	s_or_b32 s7, vcc_lo, s7
	s_wait_alu 0xfffe
	s_and_not1_b32 exec_lo, exec_lo, s7
	s_cbranch_execz .LBB1_229
.LBB1_147:                              ; =>This Loop Header: Depth=1
                                        ;     Child Loop BB1_150 Depth 2
                                        ;     Child Loop BB1_158 Depth 2
	;; [unrolled: 1-line block ×11, first 2 shown]
	v_cmp_gt_u64_e32 vcc_lo, 56, v[0:1]
	s_mov_b32 s1, exec_lo
	s_wait_alu 0xfffd
	v_dual_cndmask_b32 v34, 0, v1 :: v_dual_cndmask_b32 v33, 56, v0
	v_add_co_u32 v19, vcc_lo, v2, 8
	s_wait_alu 0xfffd
	v_add_co_ci_u32_e64 v20, null, 0, v3, vcc_lo
	v_cmpx_gt_u64_e32 8, v[0:1]
	s_wait_alu 0xfffe
	s_xor_b32 s1, exec_lo, s1
	s_cbranch_execz .LBB1_153
; %bb.148:                              ;   in Loop: Header=BB1_147 Depth=1
	v_mov_b32_e32 v11, 0
	v_mov_b32_e32 v12, 0
	s_mov_b32 s11, exec_lo
	v_cmpx_ne_u64_e32 0, v[0:1]
	s_cbranch_execz .LBB1_152
; %bb.149:                              ;   in Loop: Header=BB1_147 Depth=1
	v_lshlrev_b64_e32 v[17:18], 3, v[33:34]
	v_mov_b32_e32 v11, 0
	v_dual_mov_b32 v12, 0 :: v_dual_mov_b32 v19, v3
	v_mov_b32_e32 v18, v2
	s_mov_b64 s[4:5], 0
	s_mov_b32 s12, 0
.LBB1_150:                              ;   Parent Loop BB1_147 Depth=1
                                        ; =>  This Inner Loop Header: Depth=2
	global_load_u8 v13, v[18:19], off
	v_mov_b32_e32 v21, s10
	v_add_co_u32 v18, vcc_lo, v18, 1
	s_wait_alu 0xfffd
	v_add_co_ci_u32_e64 v19, null, 0, v19, vcc_lo
	s_wait_loadcnt 0x0
	v_and_b32_e32 v20, 0xffff, v13
	s_wait_alu 0xfffe
	s_delay_alu instid0(VALU_DEP_1) | instskip(SKIP_3) | instid1(VALU_DEP_2)
	v_lshlrev_b64_e32 v[20:21], s4, v[20:21]
	s_add_nc_u64 s[4:5], s[4:5], 8
	s_wait_alu 0xfffe
	v_cmp_eq_u32_e64 s0, s4, v17
	v_or_b32_e32 v12, v21, v12
	s_delay_alu instid0(VALU_DEP_3)
	v_or_b32_e32 v11, v20, v11
	s_or_b32 s12, s0, s12
	s_wait_alu 0xfffe
	s_and_not1_b32 exec_lo, exec_lo, s12
	s_cbranch_execnz .LBB1_150
; %bb.151:                              ;   in Loop: Header=BB1_147 Depth=1
	s_or_b32 exec_lo, exec_lo, s12
.LBB1_152:                              ;   in Loop: Header=BB1_147 Depth=1
	s_wait_alu 0xfffe
	s_or_b32 exec_lo, exec_lo, s11
	v_dual_mov_b32 v20, v3 :: v_dual_mov_b32 v19, v2
.LBB1_153:                              ;   in Loop: Header=BB1_147 Depth=1
	s_wait_alu 0xfffe
	s_or_saveexec_b32 s0, s1
	v_mov_b32_e32 v13, 0
	s_wait_alu 0xfffe
	s_xor_b32 exec_lo, exec_lo, s0
	s_cbranch_execz .LBB1_155
; %bb.154:                              ;   in Loop: Header=BB1_147 Depth=1
	global_load_b64 v[11:12], v[2:3], off
	v_add_nc_u32_e32 v13, -8, v33
.LBB1_155:                              ;   in Loop: Header=BB1_147 Depth=1
	s_or_b32 exec_lo, exec_lo, s0
	v_add_co_u32 v21, s0, v19, 8
	s_wait_alu 0xf1ff
	v_add_co_ci_u32_e64 v22, null, 0, v20, s0
                                        ; implicit-def: $vgpr17_vgpr18
	s_mov_b32 s0, exec_lo
	v_cmpx_gt_u32_e32 8, v13
	s_wait_alu 0xfffe
	s_xor_b32 s11, exec_lo, s0
	s_cbranch_execz .LBB1_161
; %bb.156:                              ;   in Loop: Header=BB1_147 Depth=1
	v_mov_b32_e32 v17, 0
	v_mov_b32_e32 v18, 0
	s_mov_b32 s12, exec_lo
	v_cmpx_ne_u32_e32 0, v13
	s_cbranch_execz .LBB1_160
; %bb.157:                              ;   in Loop: Header=BB1_147 Depth=1
	v_mov_b32_e32 v17, 0
	v_mov_b32_e32 v18, 0
	s_mov_b64 s[0:1], 0
	s_mov_b32 s13, 0
	s_mov_b64 s[4:5], 0
.LBB1_158:                              ;   Parent Loop BB1_147 Depth=1
                                        ; =>  This Inner Loop Header: Depth=2
	s_wait_alu 0xfffe
	v_add_co_u32 v21, vcc_lo, v19, s4
	s_wait_alu 0xfffd
	v_add_co_ci_u32_e64 v22, null, s5, v20, vcc_lo
	s_add_nc_u64 s[4:5], s[4:5], 1
	s_wait_alu 0xfffe
	v_cmp_eq_u32_e32 vcc_lo, s4, v13
	global_load_u8 v21, v[21:22], off
	v_mov_b32_e32 v22, s10
	s_or_b32 s13, vcc_lo, s13
	s_wait_loadcnt 0x0
	v_and_b32_e32 v21, 0xffff, v21
	s_delay_alu instid0(VALU_DEP_1) | instskip(SKIP_1) | instid1(VALU_DEP_1)
	v_lshlrev_b64_e32 v[21:22], s0, v[21:22]
	s_add_nc_u64 s[0:1], s[0:1], 8
	v_or_b32_e32 v18, v22, v18
	s_delay_alu instid0(VALU_DEP_2)
	v_or_b32_e32 v17, v21, v17
	s_wait_alu 0xfffe
	s_and_not1_b32 exec_lo, exec_lo, s13
	s_cbranch_execnz .LBB1_158
; %bb.159:                              ;   in Loop: Header=BB1_147 Depth=1
	s_or_b32 exec_lo, exec_lo, s13
.LBB1_160:                              ;   in Loop: Header=BB1_147 Depth=1
	s_wait_alu 0xfffe
	s_or_b32 exec_lo, exec_lo, s12
	v_dual_mov_b32 v22, v20 :: v_dual_mov_b32 v21, v19
                                        ; implicit-def: $vgpr13
.LBB1_161:                              ;   in Loop: Header=BB1_147 Depth=1
	s_wait_alu 0xfffe
	s_or_saveexec_b32 s0, s11
	v_mov_b32_e32 v25, 0
	s_wait_alu 0xfffe
	s_xor_b32 exec_lo, exec_lo, s0
	s_cbranch_execz .LBB1_163
; %bb.162:                              ;   in Loop: Header=BB1_147 Depth=1
	global_load_b64 v[17:18], v[19:20], off
	v_add_nc_u32_e32 v25, -8, v13
.LBB1_163:                              ;   in Loop: Header=BB1_147 Depth=1
	s_or_b32 exec_lo, exec_lo, s0
	v_add_co_u32 v23, s0, v21, 8
	s_wait_alu 0xf1ff
	v_add_co_ci_u32_e64 v24, null, 0, v22, s0
	s_mov_b32 s0, exec_lo
	v_cmpx_gt_u32_e32 8, v25
	s_wait_alu 0xfffe
	s_xor_b32 s11, exec_lo, s0
	s_cbranch_execz .LBB1_169
; %bb.164:                              ;   in Loop: Header=BB1_147 Depth=1
	v_mov_b32_e32 v19, 0
	v_mov_b32_e32 v20, 0
	s_mov_b32 s12, exec_lo
	v_cmpx_ne_u32_e32 0, v25
	s_cbranch_execz .LBB1_168
; %bb.165:                              ;   in Loop: Header=BB1_147 Depth=1
	v_mov_b32_e32 v19, 0
	v_mov_b32_e32 v20, 0
	s_mov_b64 s[0:1], 0
	s_mov_b32 s13, 0
	s_mov_b64 s[4:5], 0
.LBB1_166:                              ;   Parent Loop BB1_147 Depth=1
                                        ; =>  This Inner Loop Header: Depth=2
	s_wait_alu 0xfffe
	v_add_co_u32 v23, vcc_lo, v21, s4
	s_wait_alu 0xfffd
	v_add_co_ci_u32_e64 v24, null, s5, v22, vcc_lo
	s_add_nc_u64 s[4:5], s[4:5], 1
	s_wait_alu 0xfffe
	v_cmp_eq_u32_e32 vcc_lo, s4, v25
	global_load_u8 v13, v[23:24], off
	v_mov_b32_e32 v24, s10
	s_or_b32 s13, vcc_lo, s13
	s_wait_loadcnt 0x0
	v_and_b32_e32 v23, 0xffff, v13
	s_delay_alu instid0(VALU_DEP_1) | instskip(SKIP_1) | instid1(VALU_DEP_1)
	v_lshlrev_b64_e32 v[23:24], s0, v[23:24]
	s_add_nc_u64 s[0:1], s[0:1], 8
	v_or_b32_e32 v20, v24, v20
	s_delay_alu instid0(VALU_DEP_2)
	v_or_b32_e32 v19, v23, v19
	s_wait_alu 0xfffe
	s_and_not1_b32 exec_lo, exec_lo, s13
	s_cbranch_execnz .LBB1_166
; %bb.167:                              ;   in Loop: Header=BB1_147 Depth=1
	s_or_b32 exec_lo, exec_lo, s13
.LBB1_168:                              ;   in Loop: Header=BB1_147 Depth=1
	s_wait_alu 0xfffe
	s_or_b32 exec_lo, exec_lo, s12
	v_dual_mov_b32 v24, v22 :: v_dual_mov_b32 v23, v21
                                        ; implicit-def: $vgpr25
.LBB1_169:                              ;   in Loop: Header=BB1_147 Depth=1
	s_wait_alu 0xfffe
	s_or_saveexec_b32 s0, s11
	v_mov_b32_e32 v13, 0
	s_wait_alu 0xfffe
	s_xor_b32 exec_lo, exec_lo, s0
	s_cbranch_execz .LBB1_171
; %bb.170:                              ;   in Loop: Header=BB1_147 Depth=1
	global_load_b64 v[19:20], v[21:22], off
	v_add_nc_u32_e32 v13, -8, v25
.LBB1_171:                              ;   in Loop: Header=BB1_147 Depth=1
	s_or_b32 exec_lo, exec_lo, s0
	v_add_co_u32 v25, s0, v23, 8
	s_wait_alu 0xf1ff
	v_add_co_ci_u32_e64 v26, null, 0, v24, s0
                                        ; implicit-def: $vgpr21_vgpr22
	s_mov_b32 s0, exec_lo
	v_cmpx_gt_u32_e32 8, v13
	s_wait_alu 0xfffe
	s_xor_b32 s11, exec_lo, s0
	s_cbranch_execz .LBB1_177
; %bb.172:                              ;   in Loop: Header=BB1_147 Depth=1
	v_mov_b32_e32 v21, 0
	v_mov_b32_e32 v22, 0
	s_mov_b32 s12, exec_lo
	v_cmpx_ne_u32_e32 0, v13
	s_cbranch_execz .LBB1_176
; %bb.173:                              ;   in Loop: Header=BB1_147 Depth=1
	v_mov_b32_e32 v21, 0
	v_mov_b32_e32 v22, 0
	s_mov_b64 s[0:1], 0
	s_mov_b32 s13, 0
	s_mov_b64 s[4:5], 0
.LBB1_174:                              ;   Parent Loop BB1_147 Depth=1
                                        ; =>  This Inner Loop Header: Depth=2
	s_wait_alu 0xfffe
	v_add_co_u32 v25, vcc_lo, v23, s4
	s_wait_alu 0xfffd
	v_add_co_ci_u32_e64 v26, null, s5, v24, vcc_lo
	s_add_nc_u64 s[4:5], s[4:5], 1
	s_wait_alu 0xfffe
	v_cmp_eq_u32_e32 vcc_lo, s4, v13
	global_load_u8 v25, v[25:26], off
	v_mov_b32_e32 v26, s10
	s_or_b32 s13, vcc_lo, s13
	s_wait_loadcnt 0x0
	v_and_b32_e32 v25, 0xffff, v25
	s_delay_alu instid0(VALU_DEP_1) | instskip(SKIP_1) | instid1(VALU_DEP_1)
	v_lshlrev_b64_e32 v[25:26], s0, v[25:26]
	s_add_nc_u64 s[0:1], s[0:1], 8
	v_or_b32_e32 v22, v26, v22
	s_delay_alu instid0(VALU_DEP_2)
	v_or_b32_e32 v21, v25, v21
	s_wait_alu 0xfffe
	s_and_not1_b32 exec_lo, exec_lo, s13
	s_cbranch_execnz .LBB1_174
; %bb.175:                              ;   in Loop: Header=BB1_147 Depth=1
	s_or_b32 exec_lo, exec_lo, s13
.LBB1_176:                              ;   in Loop: Header=BB1_147 Depth=1
	s_wait_alu 0xfffe
	s_or_b32 exec_lo, exec_lo, s12
	v_dual_mov_b32 v26, v24 :: v_dual_mov_b32 v25, v23
                                        ; implicit-def: $vgpr13
.LBB1_177:                              ;   in Loop: Header=BB1_147 Depth=1
	s_wait_alu 0xfffe
	s_or_saveexec_b32 s0, s11
	v_mov_b32_e32 v29, 0
	s_wait_alu 0xfffe
	s_xor_b32 exec_lo, exec_lo, s0
	s_cbranch_execz .LBB1_179
; %bb.178:                              ;   in Loop: Header=BB1_147 Depth=1
	global_load_b64 v[21:22], v[23:24], off
	v_add_nc_u32_e32 v29, -8, v13
.LBB1_179:                              ;   in Loop: Header=BB1_147 Depth=1
	s_or_b32 exec_lo, exec_lo, s0
	v_add_co_u32 v27, s0, v25, 8
	s_wait_alu 0xf1ff
	v_add_co_ci_u32_e64 v28, null, 0, v26, s0
	s_mov_b32 s0, exec_lo
	v_cmpx_gt_u32_e32 8, v29
	s_wait_alu 0xfffe
	s_xor_b32 s11, exec_lo, s0
	s_cbranch_execz .LBB1_185
; %bb.180:                              ;   in Loop: Header=BB1_147 Depth=1
	v_mov_b32_e32 v23, 0
	v_mov_b32_e32 v24, 0
	s_mov_b32 s12, exec_lo
	v_cmpx_ne_u32_e32 0, v29
	s_cbranch_execz .LBB1_184
; %bb.181:                              ;   in Loop: Header=BB1_147 Depth=1
	v_mov_b32_e32 v23, 0
	v_mov_b32_e32 v24, 0
	s_mov_b64 s[0:1], 0
	s_mov_b32 s13, 0
	s_mov_b64 s[4:5], 0
.LBB1_182:                              ;   Parent Loop BB1_147 Depth=1
                                        ; =>  This Inner Loop Header: Depth=2
	s_wait_alu 0xfffe
	v_add_co_u32 v27, vcc_lo, v25, s4
	s_wait_alu 0xfffd
	v_add_co_ci_u32_e64 v28, null, s5, v26, vcc_lo
	s_add_nc_u64 s[4:5], s[4:5], 1
	s_wait_alu 0xfffe
	v_cmp_eq_u32_e32 vcc_lo, s4, v29
	global_load_u8 v13, v[27:28], off
	v_mov_b32_e32 v28, s10
	s_or_b32 s13, vcc_lo, s13
	s_wait_loadcnt 0x0
	v_and_b32_e32 v27, 0xffff, v13
	s_delay_alu instid0(VALU_DEP_1) | instskip(SKIP_1) | instid1(VALU_DEP_1)
	v_lshlrev_b64_e32 v[27:28], s0, v[27:28]
	s_add_nc_u64 s[0:1], s[0:1], 8
	v_or_b32_e32 v24, v28, v24
	s_delay_alu instid0(VALU_DEP_2)
	v_or_b32_e32 v23, v27, v23
	s_wait_alu 0xfffe
	s_and_not1_b32 exec_lo, exec_lo, s13
	s_cbranch_execnz .LBB1_182
; %bb.183:                              ;   in Loop: Header=BB1_147 Depth=1
	s_or_b32 exec_lo, exec_lo, s13
.LBB1_184:                              ;   in Loop: Header=BB1_147 Depth=1
	s_wait_alu 0xfffe
	s_or_b32 exec_lo, exec_lo, s12
	v_dual_mov_b32 v28, v26 :: v_dual_mov_b32 v27, v25
                                        ; implicit-def: $vgpr29
.LBB1_185:                              ;   in Loop: Header=BB1_147 Depth=1
	s_wait_alu 0xfffe
	s_or_saveexec_b32 s0, s11
	v_mov_b32_e32 v13, 0
	s_wait_alu 0xfffe
	s_xor_b32 exec_lo, exec_lo, s0
	s_cbranch_execz .LBB1_187
; %bb.186:                              ;   in Loop: Header=BB1_147 Depth=1
	global_load_b64 v[23:24], v[25:26], off
	v_add_nc_u32_e32 v13, -8, v29
.LBB1_187:                              ;   in Loop: Header=BB1_147 Depth=1
	s_or_b32 exec_lo, exec_lo, s0
	v_add_co_u32 v29, s0, v27, 8
	s_wait_alu 0xf1ff
	v_add_co_ci_u32_e64 v30, null, 0, v28, s0
                                        ; implicit-def: $vgpr25_vgpr26
	s_mov_b32 s0, exec_lo
	v_cmpx_gt_u32_e32 8, v13
	s_wait_alu 0xfffe
	s_xor_b32 s11, exec_lo, s0
	s_cbranch_execz .LBB1_193
; %bb.188:                              ;   in Loop: Header=BB1_147 Depth=1
	v_mov_b32_e32 v25, 0
	v_mov_b32_e32 v26, 0
	s_mov_b32 s12, exec_lo
	v_cmpx_ne_u32_e32 0, v13
	s_cbranch_execz .LBB1_192
; %bb.189:                              ;   in Loop: Header=BB1_147 Depth=1
	v_mov_b32_e32 v25, 0
	v_mov_b32_e32 v26, 0
	s_mov_b64 s[0:1], 0
	s_mov_b32 s13, 0
	s_mov_b64 s[4:5], 0
.LBB1_190:                              ;   Parent Loop BB1_147 Depth=1
                                        ; =>  This Inner Loop Header: Depth=2
	s_wait_alu 0xfffe
	v_add_co_u32 v29, vcc_lo, v27, s4
	s_wait_alu 0xfffd
	v_add_co_ci_u32_e64 v30, null, s5, v28, vcc_lo
	s_add_nc_u64 s[4:5], s[4:5], 1
	s_wait_alu 0xfffe
	v_cmp_eq_u32_e32 vcc_lo, s4, v13
	global_load_u8 v29, v[29:30], off
	v_mov_b32_e32 v30, s10
	s_or_b32 s13, vcc_lo, s13
	s_wait_loadcnt 0x0
	v_and_b32_e32 v29, 0xffff, v29
	s_delay_alu instid0(VALU_DEP_1) | instskip(SKIP_1) | instid1(VALU_DEP_1)
	v_lshlrev_b64_e32 v[29:30], s0, v[29:30]
	s_add_nc_u64 s[0:1], s[0:1], 8
	v_or_b32_e32 v26, v30, v26
	s_delay_alu instid0(VALU_DEP_2)
	v_or_b32_e32 v25, v29, v25
	s_wait_alu 0xfffe
	s_and_not1_b32 exec_lo, exec_lo, s13
	s_cbranch_execnz .LBB1_190
; %bb.191:                              ;   in Loop: Header=BB1_147 Depth=1
	s_or_b32 exec_lo, exec_lo, s13
.LBB1_192:                              ;   in Loop: Header=BB1_147 Depth=1
	s_wait_alu 0xfffe
	s_or_b32 exec_lo, exec_lo, s12
	v_dual_mov_b32 v30, v28 :: v_dual_mov_b32 v29, v27
                                        ; implicit-def: $vgpr13
.LBB1_193:                              ;   in Loop: Header=BB1_147 Depth=1
	s_wait_alu 0xfffe
	s_or_saveexec_b32 s0, s11
	v_mov_b32_e32 v31, 0
	s_wait_alu 0xfffe
	s_xor_b32 exec_lo, exec_lo, s0
	s_cbranch_execz .LBB1_195
; %bb.194:                              ;   in Loop: Header=BB1_147 Depth=1
	global_load_b64 v[25:26], v[27:28], off
	v_add_nc_u32_e32 v31, -8, v13
.LBB1_195:                              ;   in Loop: Header=BB1_147 Depth=1
	s_or_b32 exec_lo, exec_lo, s0
	s_delay_alu instid0(SALU_CYCLE_1) | instskip(NEXT) | instid1(VALU_DEP_1)
	s_mov_b32 s0, exec_lo
	v_cmpx_gt_u32_e32 8, v31
	s_wait_alu 0xfffe
	s_xor_b32 s1, exec_lo, s0
	s_cbranch_execz .LBB1_201
; %bb.196:                              ;   in Loop: Header=BB1_147 Depth=1
	v_mov_b32_e32 v27, 0
	v_mov_b32_e32 v28, 0
	s_mov_b32 s11, exec_lo
	v_cmpx_ne_u32_e32 0, v31
	s_cbranch_execz .LBB1_200
; %bb.197:                              ;   in Loop: Header=BB1_147 Depth=1
	v_mov_b32_e32 v27, 0
	v_mov_b32_e32 v28, 0
	s_mov_b64 s[4:5], 0
	s_mov_b32 s12, 0
.LBB1_198:                              ;   Parent Loop BB1_147 Depth=1
                                        ; =>  This Inner Loop Header: Depth=2
	global_load_u8 v13, v[29:30], off
	v_dual_mov_b32 v36, s10 :: v_dual_add_nc_u32 v31, -1, v31
	v_add_co_u32 v29, vcc_lo, v29, 1
	s_wait_alu 0xfffd
	v_add_co_ci_u32_e64 v30, null, 0, v30, vcc_lo
	s_delay_alu instid0(VALU_DEP_3) | instskip(SKIP_4) | instid1(VALU_DEP_1)
	v_cmp_eq_u32_e64 s0, 0, v31
	s_wait_alu 0xfffe
	s_or_b32 s12, s0, s12
	s_wait_loadcnt 0x0
	v_and_b32_e32 v35, 0xffff, v13
	v_lshlrev_b64_e32 v[35:36], s4, v[35:36]
	s_add_nc_u64 s[4:5], s[4:5], 8
	s_delay_alu instid0(VALU_DEP_1) | instskip(NEXT) | instid1(VALU_DEP_2)
	v_or_b32_e32 v28, v36, v28
	v_or_b32_e32 v27, v35, v27
	s_wait_alu 0xfffe
	s_and_not1_b32 exec_lo, exec_lo, s12
	s_cbranch_execnz .LBB1_198
; %bb.199:                              ;   in Loop: Header=BB1_147 Depth=1
	s_or_b32 exec_lo, exec_lo, s12
.LBB1_200:                              ;   in Loop: Header=BB1_147 Depth=1
	s_wait_alu 0xfffe
	s_or_b32 exec_lo, exec_lo, s11
                                        ; implicit-def: $vgpr29_vgpr30
.LBB1_201:                              ;   in Loop: Header=BB1_147 Depth=1
	s_wait_alu 0xfffe
	s_and_not1_saveexec_b32 s0, s1
	s_cbranch_execz .LBB1_203
; %bb.202:                              ;   in Loop: Header=BB1_147 Depth=1
	global_load_b64 v[27:28], v[29:30], off
.LBB1_203:                              ;   in Loop: Header=BB1_147 Depth=1
	s_wait_alu 0xfffe
	s_or_b32 exec_lo, exec_lo, s0
	v_readfirstlane_b32 s0, v50
	v_mov_b32_e32 v35, 0
	v_mov_b32_e32 v36, 0
	s_wait_alu 0xf1ff
	s_delay_alu instid0(VALU_DEP_3)
	v_cmp_eq_u32_e64 s0, s0, v50
	s_and_saveexec_b32 s1, s0
	s_cbranch_execz .LBB1_209
; %bb.204:                              ;   in Loop: Header=BB1_147 Depth=1
	global_load_b64 v[31:32], v14, s[2:3] offset:24 scope:SCOPE_SYS
	s_wait_loadcnt 0x0
	global_inv scope:SCOPE_SYS
	s_clause 0x1
	global_load_b64 v[29:30], v14, s[2:3] offset:40
	global_load_b64 v[35:36], v14, s[2:3]
	s_mov_b32 s4, exec_lo
	s_wait_loadcnt 0x1
	v_and_b32_e32 v13, v30, v32
	v_and_b32_e32 v29, v29, v31
	s_delay_alu instid0(VALU_DEP_2) | instskip(NEXT) | instid1(VALU_DEP_2)
	v_mul_lo_u32 v13, 24, v13
	v_mul_lo_u32 v30, 0, v29
	v_mul_hi_u32 v37, 24, v29
	v_mul_lo_u32 v29, 24, v29
	s_delay_alu instid0(VALU_DEP_3) | instskip(SKIP_1) | instid1(VALU_DEP_2)
	v_add_nc_u32_e32 v13, v13, v30
	s_wait_loadcnt 0x0
	v_add_co_u32 v29, vcc_lo, v35, v29
	s_delay_alu instid0(VALU_DEP_2) | instskip(SKIP_1) | instid1(VALU_DEP_1)
	v_add_nc_u32_e32 v13, v13, v37
	s_wait_alu 0xfffd
	v_add_co_ci_u32_e64 v30, null, v36, v13, vcc_lo
	global_load_b64 v[29:30], v[29:30], off scope:SCOPE_SYS
	s_wait_loadcnt 0x0
	global_atomic_cmpswap_b64 v[35:36], v14, v[29:32], s[2:3] offset:24 th:TH_ATOMIC_RETURN scope:SCOPE_SYS
	s_wait_loadcnt 0x0
	global_inv scope:SCOPE_SYS
	v_cmpx_ne_u64_e64 v[35:36], v[31:32]
	s_cbranch_execz .LBB1_208
; %bb.205:                              ;   in Loop: Header=BB1_147 Depth=1
	s_mov_b32 s5, 0
.LBB1_206:                              ;   Parent Loop BB1_147 Depth=1
                                        ; =>  This Inner Loop Header: Depth=2
	s_sleep 1
	s_clause 0x1
	global_load_b64 v[29:30], v14, s[2:3] offset:40
	global_load_b64 v[37:38], v14, s[2:3]
	v_dual_mov_b32 v31, v35 :: v_dual_mov_b32 v32, v36
	s_wait_loadcnt 0x1
	s_delay_alu instid0(VALU_DEP_1) | instskip(NEXT) | instid1(VALU_DEP_2)
	v_and_b32_e32 v13, v29, v31
	v_and_b32_e32 v29, v30, v32
	s_wait_loadcnt 0x0
	s_delay_alu instid0(VALU_DEP_2) | instskip(NEXT) | instid1(VALU_DEP_1)
	v_mad_co_u64_u32 v[35:36], null, v13, 24, v[37:38]
	v_mov_b32_e32 v13, v36
	s_delay_alu instid0(VALU_DEP_1) | instskip(NEXT) | instid1(VALU_DEP_1)
	v_mad_co_u64_u32 v[29:30], null, v29, 24, v[13:14]
	v_mov_b32_e32 v36, v29
	global_load_b64 v[29:30], v[35:36], off scope:SCOPE_SYS
	s_wait_loadcnt 0x0
	global_atomic_cmpswap_b64 v[35:36], v14, v[29:32], s[2:3] offset:24 th:TH_ATOMIC_RETURN scope:SCOPE_SYS
	s_wait_loadcnt 0x0
	global_inv scope:SCOPE_SYS
	v_cmp_eq_u64_e32 vcc_lo, v[35:36], v[31:32]
	s_wait_alu 0xfffe
	s_or_b32 s5, vcc_lo, s5
	s_wait_alu 0xfffe
	s_and_not1_b32 exec_lo, exec_lo, s5
	s_cbranch_execnz .LBB1_206
; %bb.207:                              ;   in Loop: Header=BB1_147 Depth=1
	s_or_b32 exec_lo, exec_lo, s5
.LBB1_208:                              ;   in Loop: Header=BB1_147 Depth=1
	s_wait_alu 0xfffe
	s_or_b32 exec_lo, exec_lo, s4
.LBB1_209:                              ;   in Loop: Header=BB1_147 Depth=1
	s_wait_alu 0xfffe
	s_or_b32 exec_lo, exec_lo, s1
	s_clause 0x1
	global_load_b64 v[37:38], v14, s[2:3] offset:40
	global_load_b128 v[29:32], v14, s[2:3]
	v_readfirstlane_b32 s5, v36
	v_readfirstlane_b32 s4, v35
	s_mov_b32 s1, exec_lo
	s_wait_loadcnt 0x1
	s_wait_alu 0xf1ff
	v_and_b32_e32 v38, s5, v38
	v_and_b32_e32 v37, s4, v37
	s_delay_alu instid0(VALU_DEP_2) | instskip(NEXT) | instid1(VALU_DEP_2)
	v_mul_lo_u32 v13, 24, v38
	v_mul_lo_u32 v35, 0, v37
	v_mul_hi_u32 v36, 24, v37
	v_mul_lo_u32 v49, 24, v37
	s_delay_alu instid0(VALU_DEP_3) | instskip(SKIP_1) | instid1(VALU_DEP_2)
	v_add_nc_u32_e32 v13, v13, v35
	s_wait_loadcnt 0x0
	v_add_co_u32 v35, vcc_lo, v29, v49
	s_delay_alu instid0(VALU_DEP_2) | instskip(SKIP_1) | instid1(VALU_DEP_1)
	v_add_nc_u32_e32 v13, v13, v36
	s_wait_alu 0xfffd
	v_add_co_ci_u32_e64 v36, null, v30, v13, vcc_lo
	s_and_saveexec_b32 s11, s0
	s_cbranch_execz .LBB1_211
; %bb.210:                              ;   in Loop: Header=BB1_147 Depth=1
	s_wait_alu 0xfffe
	v_mov_b32_e32 v13, s1
	global_store_b128 v[35:36], v[13:16], off offset:8
.LBB1_211:                              ;   in Loop: Header=BB1_147 Depth=1
	s_wait_alu 0xfffe
	s_or_b32 exec_lo, exec_lo, s11
	v_cmp_gt_u64_e32 vcc_lo, 57, v[0:1]
	v_lshlrev_b64_e32 v[37:38], 12, v[37:38]
	v_and_b32_e32 v9, 0xffffff1f, v9
	v_lshl_add_u32 v49, v33, 2, 28
	s_wait_alu 0xfffd
	v_cndmask_b32_e32 v13, 0, v48, vcc_lo
	s_delay_alu instid0(VALU_DEP_4) | instskip(SKIP_2) | instid1(VALU_DEP_3)
	v_add_co_u32 v31, vcc_lo, v31, v37
	s_wait_alu 0xfffd
	v_add_co_ci_u32_e64 v32, null, v32, v38, vcc_lo
	v_or_b32_e32 v9, v9, v13
	s_delay_alu instid0(VALU_DEP_3) | instskip(NEXT) | instid1(VALU_DEP_3)
	v_readfirstlane_b32 s12, v31
	v_readfirstlane_b32 s13, v32
	s_delay_alu instid0(VALU_DEP_3)
	v_and_or_b32 v9, 0x1e0, v49, v9
	s_clause 0x3
	global_store_b128 v39, v[9:12], s[12:13]
	global_store_b128 v39, v[17:20], s[12:13] offset:16
	global_store_b128 v39, v[21:24], s[12:13] offset:32
	;; [unrolled: 1-line block ×3, first 2 shown]
	s_and_saveexec_b32 s1, s0
	s_cbranch_execz .LBB1_219
; %bb.212:                              ;   in Loop: Header=BB1_147 Depth=1
	s_clause 0x1
	global_load_b64 v[21:22], v14, s[2:3] offset:32 scope:SCOPE_SYS
	global_load_b64 v[9:10], v14, s[2:3] offset:40
	s_mov_b32 s11, exec_lo
	v_dual_mov_b32 v19, s4 :: v_dual_mov_b32 v20, s5
	s_wait_loadcnt 0x0
	v_and_b32_e32 v9, s4, v9
	v_and_b32_e32 v10, s5, v10
	s_delay_alu instid0(VALU_DEP_2) | instskip(NEXT) | instid1(VALU_DEP_2)
	v_mul_lo_u32 v11, 0, v9
	v_mul_lo_u32 v10, 24, v10
	v_mul_hi_u32 v12, 24, v9
	v_mul_lo_u32 v9, 24, v9
	s_delay_alu instid0(VALU_DEP_3) | instskip(NEXT) | instid1(VALU_DEP_2)
	v_add_nc_u32_e32 v10, v10, v11
	v_add_co_u32 v17, vcc_lo, v29, v9
	s_delay_alu instid0(VALU_DEP_2) | instskip(SKIP_1) | instid1(VALU_DEP_1)
	v_add_nc_u32_e32 v10, v10, v12
	s_wait_alu 0xfffd
	v_add_co_ci_u32_e64 v18, null, v30, v10, vcc_lo
	global_store_b64 v[17:18], v[21:22], off
	global_wb scope:SCOPE_SYS
	s_wait_storecnt 0x0
	global_atomic_cmpswap_b64 v[11:12], v14, v[19:22], s[2:3] offset:32 th:TH_ATOMIC_RETURN scope:SCOPE_SYS
	s_wait_loadcnt 0x0
	v_cmpx_ne_u64_e64 v[11:12], v[21:22]
	s_cbranch_execz .LBB1_215
; %bb.213:                              ;   in Loop: Header=BB1_147 Depth=1
	s_mov_b32 s12, 0
.LBB1_214:                              ;   Parent Loop BB1_147 Depth=1
                                        ; =>  This Inner Loop Header: Depth=2
	v_dual_mov_b32 v9, s4 :: v_dual_mov_b32 v10, s5
	s_sleep 1
	global_store_b64 v[17:18], v[11:12], off
	global_wb scope:SCOPE_SYS
	s_wait_storecnt 0x0
	global_atomic_cmpswap_b64 v[9:10], v14, v[9:12], s[2:3] offset:32 th:TH_ATOMIC_RETURN scope:SCOPE_SYS
	s_wait_loadcnt 0x0
	v_cmp_eq_u64_e32 vcc_lo, v[9:10], v[11:12]
	v_dual_mov_b32 v12, v10 :: v_dual_mov_b32 v11, v9
	s_wait_alu 0xfffe
	s_or_b32 s12, vcc_lo, s12
	s_wait_alu 0xfffe
	s_and_not1_b32 exec_lo, exec_lo, s12
	s_cbranch_execnz .LBB1_214
.LBB1_215:                              ;   in Loop: Header=BB1_147 Depth=1
	s_wait_alu 0xfffe
	s_or_b32 exec_lo, exec_lo, s11
	global_load_b64 v[9:10], v14, s[2:3] offset:16
	s_mov_b32 s12, exec_lo
	s_mov_b32 s11, exec_lo
	s_wait_alu 0xfffe
	v_mbcnt_lo_u32_b32 v11, s12, 0
	s_delay_alu instid0(VALU_DEP_1)
	v_cmpx_eq_u32_e32 0, v11
	s_cbranch_execz .LBB1_217
; %bb.216:                              ;   in Loop: Header=BB1_147 Depth=1
	s_bcnt1_i32_b32 s12, s12
	s_wait_alu 0xfffe
	v_mov_b32_e32 v13, s12
	global_wb scope:SCOPE_SYS
	s_wait_loadcnt 0x0
	s_wait_storecnt 0x0
	global_atomic_add_u64 v[9:10], v[13:14], off offset:8 scope:SCOPE_SYS
.LBB1_217:                              ;   in Loop: Header=BB1_147 Depth=1
	s_or_b32 exec_lo, exec_lo, s11
	s_wait_loadcnt 0x0
	global_load_b64 v[11:12], v[9:10], off offset:16
	s_wait_loadcnt 0x0
	v_cmp_eq_u64_e32 vcc_lo, 0, v[11:12]
	s_cbranch_vccnz .LBB1_219
; %bb.218:                              ;   in Loop: Header=BB1_147 Depth=1
	global_load_b32 v13, v[9:10], off offset:24
	s_wait_loadcnt 0x0
	v_readfirstlane_b32 s11, v13
	global_wb scope:SCOPE_SYS
	s_wait_storecnt 0x0
	global_store_b64 v[11:12], v[13:14], off scope:SCOPE_SYS
	s_and_b32 m0, s11, 0xffffff
	s_sendmsg sendmsg(MSG_INTERRUPT)
.LBB1_219:                              ;   in Loop: Header=BB1_147 Depth=1
	s_wait_alu 0xfffe
	s_or_b32 exec_lo, exec_lo, s1
	v_add_co_u32 v9, vcc_lo, v31, v39
	s_wait_alu 0xfffd
	v_add_co_ci_u32_e64 v10, null, 0, v32, vcc_lo
	s_branch .LBB1_223
.LBB1_220:                              ;   in Loop: Header=BB1_223 Depth=2
	s_wait_alu 0xfffe
	s_or_b32 exec_lo, exec_lo, s1
	s_delay_alu instid0(VALU_DEP_1)
	v_readfirstlane_b32 s1, v11
	s_cmp_eq_u32 s1, 0
	s_cbranch_scc1 .LBB1_222
; %bb.221:                              ;   in Loop: Header=BB1_223 Depth=2
	s_sleep 1
	s_cbranch_execnz .LBB1_223
	s_branch .LBB1_225
.LBB1_222:                              ;   in Loop: Header=BB1_147 Depth=1
	s_branch .LBB1_225
.LBB1_223:                              ;   Parent Loop BB1_147 Depth=1
                                        ; =>  This Inner Loop Header: Depth=2
	v_mov_b32_e32 v11, 1
	s_and_saveexec_b32 s1, s0
	s_cbranch_execz .LBB1_220
; %bb.224:                              ;   in Loop: Header=BB1_223 Depth=2
	global_load_b32 v11, v[35:36], off offset:20 scope:SCOPE_SYS
	s_wait_loadcnt 0x0
	global_inv scope:SCOPE_SYS
	v_and_b32_e32 v11, 1, v11
	s_branch .LBB1_220
.LBB1_225:                              ;   in Loop: Header=BB1_147 Depth=1
	global_load_b64 v[9:10], v[9:10], off
	s_and_saveexec_b32 s11, s0
	s_cbranch_execz .LBB1_146
; %bb.226:                              ;   in Loop: Header=BB1_147 Depth=1
	s_clause 0x2
	global_load_b64 v[11:12], v14, s[2:3] offset:40
	global_load_b64 v[21:22], v14, s[2:3] offset:24 scope:SCOPE_SYS
	global_load_b64 v[17:18], v14, s[2:3]
	s_wait_loadcnt 0x2
	v_readfirstlane_b32 s12, v11
	v_readfirstlane_b32 s13, v12
	s_add_nc_u64 s[0:1], s[12:13], 1
	s_wait_alu 0xfffe
	s_add_nc_u64 s[4:5], s[0:1], s[4:5]
	s_wait_alu 0xfffe
	s_cmp_eq_u64 s[4:5], 0
	s_cselect_b32 s1, s1, s5
	s_cselect_b32 s0, s0, s4
	s_wait_alu 0xfffe
	v_dual_mov_b32 v20, s1 :: v_dual_mov_b32 v19, s0
	s_and_b64 s[4:5], s[0:1], s[12:13]
	s_wait_alu 0xfffe
	s_mul_u64 s[4:5], s[4:5], 24
	s_wait_loadcnt 0x0
	s_wait_alu 0xfffe
	v_add_co_u32 v11, vcc_lo, v17, s4
	s_wait_alu 0xfffd
	v_add_co_ci_u32_e64 v12, null, s5, v18, vcc_lo
	global_store_b64 v[11:12], v[21:22], off
	global_wb scope:SCOPE_SYS
	s_wait_storecnt 0x0
	global_atomic_cmpswap_b64 v[19:20], v14, v[19:22], s[2:3] offset:24 th:TH_ATOMIC_RETURN scope:SCOPE_SYS
	s_wait_loadcnt 0x0
	v_cmp_ne_u64_e32 vcc_lo, v[19:20], v[21:22]
	s_and_b32 exec_lo, exec_lo, vcc_lo
	s_cbranch_execz .LBB1_146
; %bb.227:                              ;   in Loop: Header=BB1_147 Depth=1
	s_mov_b32 s4, 0
.LBB1_228:                              ;   Parent Loop BB1_147 Depth=1
                                        ; =>  This Inner Loop Header: Depth=2
	v_dual_mov_b32 v17, s0 :: v_dual_mov_b32 v18, s1
	s_sleep 1
	global_store_b64 v[11:12], v[19:20], off
	global_wb scope:SCOPE_SYS
	s_wait_storecnt 0x0
	global_atomic_cmpswap_b64 v[17:18], v14, v[17:20], s[2:3] offset:24 th:TH_ATOMIC_RETURN scope:SCOPE_SYS
	s_wait_loadcnt 0x0
	v_cmp_eq_u64_e32 vcc_lo, v[17:18], v[19:20]
	v_dual_mov_b32 v20, v18 :: v_dual_mov_b32 v19, v17
	s_wait_alu 0xfffe
	s_or_b32 s4, vcc_lo, s4
	s_wait_alu 0xfffe
	s_and_not1_b32 exec_lo, exec_lo, s4
	s_cbranch_execnz .LBB1_228
	s_branch .LBB1_146
.LBB1_229:
	s_or_b32 exec_lo, exec_lo, s7
.LBB1_230:
	s_wait_alu 0xfffe
	s_and_not1_saveexec_b32 s6, s6
	s_cbranch_execz .LBB1_258
; %bb.231:
	v_readfirstlane_b32 s0, v50
	v_mov_b32_e32 v12, 0
	v_mov_b32_e32 v13, 0
	s_wait_alu 0xf1ff
	s_delay_alu instid0(VALU_DEP_3)
	v_cmp_eq_u32_e64 s0, s0, v50
	s_and_saveexec_b32 s1, s0
	s_cbranch_execz .LBB1_237
; %bb.232:
	v_mov_b32_e32 v0, 0
	s_mov_b32 s4, exec_lo
	global_load_b64 v[14:15], v0, s[2:3] offset:24 scope:SCOPE_SYS
	s_wait_loadcnt 0x0
	global_inv scope:SCOPE_SYS
	s_clause 0x1
	global_load_b64 v[1:2], v0, s[2:3] offset:40
	global_load_b64 v[11:12], v0, s[2:3]
	s_wait_loadcnt 0x1
	v_and_b32_e32 v2, v2, v15
	v_and_b32_e32 v1, v1, v14
	s_delay_alu instid0(VALU_DEP_2) | instskip(NEXT) | instid1(VALU_DEP_2)
	v_mul_lo_u32 v2, 24, v2
	v_mul_lo_u32 v3, 0, v1
	v_mul_hi_u32 v13, 24, v1
	v_mul_lo_u32 v1, 24, v1
	s_delay_alu instid0(VALU_DEP_3) | instskip(SKIP_1) | instid1(VALU_DEP_2)
	v_add_nc_u32_e32 v2, v2, v3
	s_wait_loadcnt 0x0
	v_add_co_u32 v1, vcc_lo, v11, v1
	s_delay_alu instid0(VALU_DEP_2) | instskip(SKIP_1) | instid1(VALU_DEP_1)
	v_add_nc_u32_e32 v2, v2, v13
	s_wait_alu 0xfffd
	v_add_co_ci_u32_e64 v2, null, v12, v2, vcc_lo
	global_load_b64 v[12:13], v[1:2], off scope:SCOPE_SYS
	s_wait_loadcnt 0x0
	global_atomic_cmpswap_b64 v[12:13], v0, v[12:15], s[2:3] offset:24 th:TH_ATOMIC_RETURN scope:SCOPE_SYS
	s_wait_loadcnt 0x0
	global_inv scope:SCOPE_SYS
	v_cmpx_ne_u64_e64 v[12:13], v[14:15]
	s_cbranch_execz .LBB1_236
; %bb.233:
	s_mov_b32 s5, 0
.LBB1_234:                              ; =>This Inner Loop Header: Depth=1
	s_sleep 1
	s_clause 0x1
	global_load_b64 v[1:2], v0, s[2:3] offset:40
	global_load_b64 v[16:17], v0, s[2:3]
	v_dual_mov_b32 v15, v13 :: v_dual_mov_b32 v14, v12
	s_wait_loadcnt 0x1
	s_delay_alu instid0(VALU_DEP_1) | instskip(SKIP_1) | instid1(VALU_DEP_1)
	v_and_b32_e32 v1, v1, v14
	s_wait_loadcnt 0x0
	v_mad_co_u64_u32 v[11:12], null, v1, 24, v[16:17]
	s_delay_alu instid0(VALU_DEP_1) | instskip(NEXT) | instid1(VALU_DEP_1)
	v_dual_mov_b32 v1, v12 :: v_dual_and_b32 v2, v2, v15
	v_mad_co_u64_u32 v[1:2], null, v2, 24, v[1:2]
	s_delay_alu instid0(VALU_DEP_1)
	v_mov_b32_e32 v12, v1
	global_load_b64 v[12:13], v[11:12], off scope:SCOPE_SYS
	s_wait_loadcnt 0x0
	global_atomic_cmpswap_b64 v[12:13], v0, v[12:15], s[2:3] offset:24 th:TH_ATOMIC_RETURN scope:SCOPE_SYS
	s_wait_loadcnt 0x0
	global_inv scope:SCOPE_SYS
	v_cmp_eq_u64_e32 vcc_lo, v[12:13], v[14:15]
	s_wait_alu 0xfffe
	s_or_b32 s5, vcc_lo, s5
	s_wait_alu 0xfffe
	s_and_not1_b32 exec_lo, exec_lo, s5
	s_cbranch_execnz .LBB1_234
; %bb.235:
	s_or_b32 exec_lo, exec_lo, s5
.LBB1_236:
	s_wait_alu 0xfffe
	s_or_b32 exec_lo, exec_lo, s4
.LBB1_237:
	s_wait_alu 0xfffe
	s_or_b32 exec_lo, exec_lo, s1
	v_readfirstlane_b32 s5, v13
	v_mov_b32_e32 v11, 0
	v_readfirstlane_b32 s4, v12
	s_mov_b32 s1, exec_lo
	s_clause 0x1
	global_load_b64 v[14:15], v11, s[2:3] offset:40
	global_load_b128 v[0:3], v11, s[2:3]
	s_wait_loadcnt 0x1
	s_wait_alu 0xf1ff
	v_and_b32_e32 v16, s5, v15
	v_and_b32_e32 v15, s4, v14
	s_delay_alu instid0(VALU_DEP_2) | instskip(NEXT) | instid1(VALU_DEP_2)
	v_mul_lo_u32 v12, 24, v16
	v_mul_lo_u32 v13, 0, v15
	v_mul_hi_u32 v14, 24, v15
	v_mul_lo_u32 v17, 24, v15
	s_delay_alu instid0(VALU_DEP_3) | instskip(SKIP_1) | instid1(VALU_DEP_2)
	v_add_nc_u32_e32 v12, v12, v13
	s_wait_loadcnt 0x0
	v_add_co_u32 v13, vcc_lo, v0, v17
	s_delay_alu instid0(VALU_DEP_2) | instskip(SKIP_1) | instid1(VALU_DEP_1)
	v_add_nc_u32_e32 v12, v12, v14
	s_wait_alu 0xfffd
	v_add_co_ci_u32_e64 v14, null, v1, v12, vcc_lo
	s_and_saveexec_b32 s7, s0
	s_cbranch_execz .LBB1_239
; %bb.238:
	s_wait_alu 0xfffe
	v_dual_mov_b32 v17, s1 :: v_dual_mov_b32 v18, v11
	v_dual_mov_b32 v19, 2 :: v_dual_mov_b32 v20, 1
	global_store_b128 v[13:14], v[17:20], off offset:8
.LBB1_239:
	s_wait_alu 0xfffe
	s_or_b32 exec_lo, exec_lo, s7
	v_lshlrev_b64_e32 v[15:16], 12, v[15:16]
	s_mov_b32 s12, 0
	v_and_or_b32 v9, 0xffffff1f, v9, 32
	s_wait_alu 0xfffe
	s_mov_b32 s15, s12
	s_mov_b32 s13, s12
	s_mov_b32 s14, s12
	v_add_co_u32 v2, vcc_lo, v2, v15
	s_wait_alu 0xfffd
	v_add_co_ci_u32_e64 v3, null, v3, v16, vcc_lo
	v_mov_b32_e32 v12, v11
	s_delay_alu instid0(VALU_DEP_3) | instskip(SKIP_1) | instid1(VALU_DEP_4)
	v_add_co_u32 v15, vcc_lo, v2, v39
	v_readfirstlane_b32 s10, v2
	v_readfirstlane_b32 s11, v3
	s_wait_alu 0xfffe
	v_dual_mov_b32 v20, s15 :: v_dual_mov_b32 v17, s12
	s_wait_alu 0xfffd
	v_add_co_ci_u32_e64 v16, null, 0, v3, vcc_lo
	v_dual_mov_b32 v19, s14 :: v_dual_mov_b32 v18, s13
	s_clause 0x3
	global_store_b128 v39, v[9:12], s[10:11]
	global_store_b128 v39, v[17:20], s[10:11] offset:16
	global_store_b128 v39, v[17:20], s[10:11] offset:32
	;; [unrolled: 1-line block ×3, first 2 shown]
	s_and_saveexec_b32 s1, s0
	s_cbranch_execz .LBB1_247
; %bb.240:
	v_mov_b32_e32 v11, 0
	v_mov_b32_e32 v17, s4
	s_mov_b32 s7, exec_lo
	s_clause 0x1
	global_load_b64 v[19:20], v11, s[2:3] offset:32 scope:SCOPE_SYS
	global_load_b64 v[2:3], v11, s[2:3] offset:40
	s_wait_loadcnt 0x0
	v_dual_mov_b32 v18, s5 :: v_dual_and_b32 v3, s5, v3
	v_and_b32_e32 v2, s4, v2
	s_delay_alu instid0(VALU_DEP_2) | instskip(NEXT) | instid1(VALU_DEP_2)
	v_mul_lo_u32 v3, 24, v3
	v_mul_lo_u32 v9, 0, v2
	v_mul_hi_u32 v10, 24, v2
	v_mul_lo_u32 v2, 24, v2
	s_delay_alu instid0(VALU_DEP_3) | instskip(NEXT) | instid1(VALU_DEP_2)
	v_add_nc_u32_e32 v3, v3, v9
	v_add_co_u32 v9, vcc_lo, v0, v2
	s_delay_alu instid0(VALU_DEP_2) | instskip(SKIP_1) | instid1(VALU_DEP_1)
	v_add_nc_u32_e32 v3, v3, v10
	s_wait_alu 0xfffd
	v_add_co_ci_u32_e64 v10, null, v1, v3, vcc_lo
	global_store_b64 v[9:10], v[19:20], off
	global_wb scope:SCOPE_SYS
	s_wait_storecnt 0x0
	global_atomic_cmpswap_b64 v[2:3], v11, v[17:20], s[2:3] offset:32 th:TH_ATOMIC_RETURN scope:SCOPE_SYS
	s_wait_loadcnt 0x0
	v_cmpx_ne_u64_e64 v[2:3], v[19:20]
	s_cbranch_execz .LBB1_243
; %bb.241:
	s_mov_b32 s10, 0
.LBB1_242:                              ; =>This Inner Loop Header: Depth=1
	v_dual_mov_b32 v0, s4 :: v_dual_mov_b32 v1, s5
	s_sleep 1
	global_store_b64 v[9:10], v[2:3], off
	global_wb scope:SCOPE_SYS
	s_wait_storecnt 0x0
	global_atomic_cmpswap_b64 v[0:1], v11, v[0:3], s[2:3] offset:32 th:TH_ATOMIC_RETURN scope:SCOPE_SYS
	s_wait_loadcnt 0x0
	v_cmp_eq_u64_e32 vcc_lo, v[0:1], v[2:3]
	v_dual_mov_b32 v3, v1 :: v_dual_mov_b32 v2, v0
	s_wait_alu 0xfffe
	s_or_b32 s10, vcc_lo, s10
	s_wait_alu 0xfffe
	s_and_not1_b32 exec_lo, exec_lo, s10
	s_cbranch_execnz .LBB1_242
.LBB1_243:
	s_wait_alu 0xfffe
	s_or_b32 exec_lo, exec_lo, s7
	v_mov_b32_e32 v3, 0
	s_mov_b32 s10, exec_lo
	s_mov_b32 s7, exec_lo
	s_wait_alu 0xfffe
	v_mbcnt_lo_u32_b32 v2, s10, 0
	global_load_b64 v[0:1], v3, s[2:3] offset:16
	v_cmpx_eq_u32_e32 0, v2
	s_cbranch_execz .LBB1_245
; %bb.244:
	s_bcnt1_i32_b32 s10, s10
	s_wait_alu 0xfffe
	v_mov_b32_e32 v2, s10
	global_wb scope:SCOPE_SYS
	s_wait_loadcnt 0x0
	s_wait_storecnt 0x0
	global_atomic_add_u64 v[0:1], v[2:3], off offset:8 scope:SCOPE_SYS
.LBB1_245:
	s_or_b32 exec_lo, exec_lo, s7
	s_wait_loadcnt 0x0
	global_load_b64 v[2:3], v[0:1], off offset:16
	s_wait_loadcnt 0x0
	v_cmp_eq_u64_e32 vcc_lo, 0, v[2:3]
	s_cbranch_vccnz .LBB1_247
; %bb.246:
	global_load_b32 v0, v[0:1], off offset:24
	v_mov_b32_e32 v1, 0
	s_wait_loadcnt 0x0
	v_readfirstlane_b32 s7, v0
	global_wb scope:SCOPE_SYS
	s_wait_storecnt 0x0
	global_store_b64 v[2:3], v[0:1], off scope:SCOPE_SYS
	s_and_b32 m0, s7, 0xffffff
	s_sendmsg sendmsg(MSG_INTERRUPT)
.LBB1_247:
	s_wait_alu 0xfffe
	s_or_b32 exec_lo, exec_lo, s1
	s_branch .LBB1_251
.LBB1_248:                              ;   in Loop: Header=BB1_251 Depth=1
	s_wait_alu 0xfffe
	s_or_b32 exec_lo, exec_lo, s1
	s_delay_alu instid0(VALU_DEP_1)
	v_readfirstlane_b32 s1, v0
	s_cmp_eq_u32 s1, 0
	s_cbranch_scc1 .LBB1_250
; %bb.249:                              ;   in Loop: Header=BB1_251 Depth=1
	s_sleep 1
	s_cbranch_execnz .LBB1_251
	s_branch .LBB1_253
.LBB1_250:
	s_branch .LBB1_253
.LBB1_251:                              ; =>This Inner Loop Header: Depth=1
	v_mov_b32_e32 v0, 1
	s_and_saveexec_b32 s1, s0
	s_cbranch_execz .LBB1_248
; %bb.252:                              ;   in Loop: Header=BB1_251 Depth=1
	global_load_b32 v0, v[13:14], off offset:20 scope:SCOPE_SYS
	s_wait_loadcnt 0x0
	global_inv scope:SCOPE_SYS
	v_and_b32_e32 v0, 1, v0
	s_branch .LBB1_248
.LBB1_253:
	global_load_b64 v[9:10], v[15:16], off
	s_and_saveexec_b32 s7, s0
	s_cbranch_execz .LBB1_257
; %bb.254:
	v_mov_b32_e32 v13, 0
	s_clause 0x2
	global_load_b64 v[0:1], v13, s[2:3] offset:40
	global_load_b64 v[16:17], v13, s[2:3] offset:24 scope:SCOPE_SYS
	global_load_b64 v[2:3], v13, s[2:3]
	s_wait_loadcnt 0x2
	v_readfirstlane_b32 s10, v0
	v_readfirstlane_b32 s11, v1
	s_add_nc_u64 s[0:1], s[10:11], 1
	s_wait_alu 0xfffe
	s_add_nc_u64 s[4:5], s[0:1], s[4:5]
	s_wait_alu 0xfffe
	s_cmp_eq_u64 s[4:5], 0
	s_cselect_b32 s1, s1, s5
	s_cselect_b32 s0, s0, s4
	s_wait_alu 0xfffe
	v_mov_b32_e32 v15, s1
	s_and_b64 s[4:5], s[0:1], s[10:11]
	v_mov_b32_e32 v14, s0
	s_wait_alu 0xfffe
	s_mul_u64 s[4:5], s[4:5], 24
	s_wait_loadcnt 0x0
	s_wait_alu 0xfffe
	v_add_co_u32 v11, vcc_lo, v2, s4
	s_wait_alu 0xfffd
	v_add_co_ci_u32_e64 v12, null, s5, v3, vcc_lo
	global_store_b64 v[11:12], v[16:17], off
	global_wb scope:SCOPE_SYS
	s_wait_storecnt 0x0
	global_atomic_cmpswap_b64 v[2:3], v13, v[14:17], s[2:3] offset:24 th:TH_ATOMIC_RETURN scope:SCOPE_SYS
	s_wait_loadcnt 0x0
	v_cmp_ne_u64_e32 vcc_lo, v[2:3], v[16:17]
	s_and_b32 exec_lo, exec_lo, vcc_lo
	s_cbranch_execz .LBB1_257
; %bb.255:
	s_mov_b32 s4, 0
.LBB1_256:                              ; =>This Inner Loop Header: Depth=1
	v_dual_mov_b32 v0, s0 :: v_dual_mov_b32 v1, s1
	s_sleep 1
	global_store_b64 v[11:12], v[2:3], off
	global_wb scope:SCOPE_SYS
	s_wait_storecnt 0x0
	global_atomic_cmpswap_b64 v[0:1], v13, v[0:3], s[2:3] offset:24 th:TH_ATOMIC_RETURN scope:SCOPE_SYS
	s_wait_loadcnt 0x0
	v_cmp_eq_u64_e32 vcc_lo, v[0:1], v[2:3]
	v_dual_mov_b32 v3, v1 :: v_dual_mov_b32 v2, v0
	s_wait_alu 0xfffe
	s_or_b32 s4, vcc_lo, s4
	s_wait_alu 0xfffe
	s_and_not1_b32 exec_lo, exec_lo, s4
	s_cbranch_execnz .LBB1_256
.LBB1_257:
	s_wait_alu 0xfffe
	s_or_b32 exec_lo, exec_lo, s7
.LBB1_258:
	s_wait_alu 0xfffe
	s_or_b32 exec_lo, exec_lo, s6
	v_readfirstlane_b32 s0, v50
	v_mov_b32_e32 v13, 0
	v_mov_b32_e32 v14, 0
	s_wait_alu 0xf1ff
	s_delay_alu instid0(VALU_DEP_3)
	v_cmp_eq_u32_e64 s0, s0, v50
	s_and_saveexec_b32 s1, s0
	s_cbranch_execz .LBB1_264
; %bb.259:
	v_mov_b32_e32 v0, 0
	s_mov_b32 s4, exec_lo
	global_load_b64 v[15:16], v0, s[2:3] offset:24 scope:SCOPE_SYS
	s_wait_loadcnt 0x0
	global_inv scope:SCOPE_SYS
	s_clause 0x1
	global_load_b64 v[1:2], v0, s[2:3] offset:40
	global_load_b64 v[11:12], v0, s[2:3]
	s_wait_loadcnt 0x1
	v_and_b32_e32 v2, v2, v16
	v_and_b32_e32 v1, v1, v15
	s_delay_alu instid0(VALU_DEP_2) | instskip(NEXT) | instid1(VALU_DEP_2)
	v_mul_lo_u32 v2, 24, v2
	v_mul_lo_u32 v3, 0, v1
	v_mul_hi_u32 v13, 24, v1
	v_mul_lo_u32 v1, 24, v1
	s_delay_alu instid0(VALU_DEP_3) | instskip(SKIP_1) | instid1(VALU_DEP_2)
	v_add_nc_u32_e32 v2, v2, v3
	s_wait_loadcnt 0x0
	v_add_co_u32 v1, vcc_lo, v11, v1
	s_delay_alu instid0(VALU_DEP_2) | instskip(SKIP_1) | instid1(VALU_DEP_1)
	v_add_nc_u32_e32 v2, v2, v13
	s_wait_alu 0xfffd
	v_add_co_ci_u32_e64 v2, null, v12, v2, vcc_lo
	global_load_b64 v[13:14], v[1:2], off scope:SCOPE_SYS
	s_wait_loadcnt 0x0
	global_atomic_cmpswap_b64 v[13:14], v0, v[13:16], s[2:3] offset:24 th:TH_ATOMIC_RETURN scope:SCOPE_SYS
	s_wait_loadcnt 0x0
	global_inv scope:SCOPE_SYS
	v_cmpx_ne_u64_e64 v[13:14], v[15:16]
	s_cbranch_execz .LBB1_263
; %bb.260:
	s_mov_b32 s5, 0
.LBB1_261:                              ; =>This Inner Loop Header: Depth=1
	s_sleep 1
	s_clause 0x1
	global_load_b64 v[1:2], v0, s[2:3] offset:40
	global_load_b64 v[11:12], v0, s[2:3]
	v_dual_mov_b32 v16, v14 :: v_dual_mov_b32 v15, v13
	s_wait_loadcnt 0x1
	s_delay_alu instid0(VALU_DEP_1) | instskip(SKIP_1) | instid1(VALU_DEP_1)
	v_and_b32_e32 v1, v1, v15
	s_wait_loadcnt 0x0
	v_mad_co_u64_u32 v[11:12], null, v1, 24, v[11:12]
	s_delay_alu instid0(VALU_DEP_1) | instskip(NEXT) | instid1(VALU_DEP_1)
	v_dual_mov_b32 v1, v12 :: v_dual_and_b32 v2, v2, v16
	v_mad_co_u64_u32 v[1:2], null, v2, 24, v[1:2]
	s_delay_alu instid0(VALU_DEP_1)
	v_mov_b32_e32 v12, v1
	global_load_b64 v[13:14], v[11:12], off scope:SCOPE_SYS
	s_wait_loadcnt 0x0
	global_atomic_cmpswap_b64 v[13:14], v0, v[13:16], s[2:3] offset:24 th:TH_ATOMIC_RETURN scope:SCOPE_SYS
	s_wait_loadcnt 0x0
	global_inv scope:SCOPE_SYS
	v_cmp_eq_u64_e32 vcc_lo, v[13:14], v[15:16]
	s_wait_alu 0xfffe
	s_or_b32 s5, vcc_lo, s5
	s_wait_alu 0xfffe
	s_and_not1_b32 exec_lo, exec_lo, s5
	s_cbranch_execnz .LBB1_261
; %bb.262:
	s_or_b32 exec_lo, exec_lo, s5
.LBB1_263:
	s_wait_alu 0xfffe
	s_or_b32 exec_lo, exec_lo, s4
.LBB1_264:
	s_wait_alu 0xfffe
	s_or_b32 exec_lo, exec_lo, s1
	v_readfirstlane_b32 s4, v13
	v_mov_b32_e32 v12, 0
	v_readfirstlane_b32 s5, v14
	s_mov_b32 s1, exec_lo
	s_clause 0x1
	global_load_b64 v[15:16], v12, s[2:3] offset:40
	global_load_b128 v[0:3], v12, s[2:3]
	s_wait_loadcnt 0x1
	s_wait_alu 0xf1ff
	v_and_b32_e32 v16, s5, v16
	v_and_b32_e32 v15, s4, v15
	s_delay_alu instid0(VALU_DEP_2) | instskip(NEXT) | instid1(VALU_DEP_2)
	v_mul_lo_u32 v11, 24, v16
	v_mul_lo_u32 v13, 0, v15
	v_mul_hi_u32 v14, 24, v15
	v_mul_lo_u32 v17, 24, v15
	s_delay_alu instid0(VALU_DEP_3) | instskip(SKIP_1) | instid1(VALU_DEP_2)
	v_add_nc_u32_e32 v11, v11, v13
	s_wait_loadcnt 0x0
	v_add_co_u32 v13, vcc_lo, v0, v17
	s_delay_alu instid0(VALU_DEP_2) | instskip(SKIP_1) | instid1(VALU_DEP_1)
	v_add_nc_u32_e32 v11, v11, v14
	s_wait_alu 0xfffd
	v_add_co_ci_u32_e64 v14, null, v1, v11, vcc_lo
	s_and_saveexec_b32 s6, s0
	s_cbranch_execz .LBB1_266
; %bb.265:
	s_wait_alu 0xfffe
	v_dual_mov_b32 v11, s1 :: v_dual_mov_b32 v20, 1
	v_dual_mov_b32 v19, 2 :: v_dual_mov_b32 v18, v12
	s_delay_alu instid0(VALU_DEP_2)
	v_mov_b32_e32 v17, v11
	global_store_b128 v[13:14], v[17:20], off offset:8
.LBB1_266:
	s_wait_alu 0xfffe
	s_or_b32 exec_lo, exec_lo, s6
	v_lshlrev_b64_e32 v[15:16], 12, v[15:16]
	s_mov_b32 s12, 0
	v_and_or_b32 v9, 0xffffff1f, v9, 32
	s_wait_alu 0xfffe
	s_mov_b32 s15, s12
	s_mov_b32 s13, s12
	;; [unrolled: 1-line block ×3, first 2 shown]
	v_add_co_u32 v2, vcc_lo, v2, v15
	s_wait_alu 0xfffd
	v_add_co_ci_u32_e64 v3, null, v3, v16, vcc_lo
	s_wait_alu 0xfffe
	v_dual_mov_b32 v11, v4 :: v_dual_mov_b32 v20, s15
	v_add_co_u32 v15, vcc_lo, v2, v39
	v_readfirstlane_b32 s6, v2
	v_readfirstlane_b32 s7, v3
	s_wait_alu 0xfffd
	v_add_co_ci_u32_e64 v16, null, 0, v3, vcc_lo
	v_dual_mov_b32 v19, s14 :: v_dual_mov_b32 v18, s13
	v_mov_b32_e32 v17, s12
	s_clause 0x3
	global_store_b128 v39, v[9:12], s[6:7]
	global_store_b128 v39, v[17:20], s[6:7] offset:16
	global_store_b128 v39, v[17:20], s[6:7] offset:32
	;; [unrolled: 1-line block ×3, first 2 shown]
	s_and_saveexec_b32 s1, s0
	s_cbranch_execz .LBB1_274
; %bb.267:
	v_mov_b32_e32 v4, 0
	s_mov_b32 s6, exec_lo
	s_clause 0x1
	global_load_b64 v[19:20], v4, s[2:3] offset:32 scope:SCOPE_SYS
	global_load_b64 v[2:3], v4, s[2:3] offset:40
	v_dual_mov_b32 v17, s4 :: v_dual_mov_b32 v18, s5
	s_wait_loadcnt 0x0
	v_and_b32_e32 v3, s5, v3
	v_and_b32_e32 v2, s4, v2
	s_delay_alu instid0(VALU_DEP_2) | instskip(NEXT) | instid1(VALU_DEP_2)
	v_mul_lo_u32 v3, 24, v3
	v_mul_lo_u32 v9, 0, v2
	v_mul_hi_u32 v10, 24, v2
	v_mul_lo_u32 v2, 24, v2
	s_delay_alu instid0(VALU_DEP_3) | instskip(NEXT) | instid1(VALU_DEP_2)
	v_add_nc_u32_e32 v3, v3, v9
	v_add_co_u32 v9, vcc_lo, v0, v2
	s_delay_alu instid0(VALU_DEP_2) | instskip(SKIP_1) | instid1(VALU_DEP_1)
	v_add_nc_u32_e32 v3, v3, v10
	s_wait_alu 0xfffd
	v_add_co_ci_u32_e64 v10, null, v1, v3, vcc_lo
	global_store_b64 v[9:10], v[19:20], off
	global_wb scope:SCOPE_SYS
	s_wait_storecnt 0x0
	global_atomic_cmpswap_b64 v[2:3], v4, v[17:20], s[2:3] offset:32 th:TH_ATOMIC_RETURN scope:SCOPE_SYS
	s_wait_loadcnt 0x0
	v_cmpx_ne_u64_e64 v[2:3], v[19:20]
	s_cbranch_execz .LBB1_270
; %bb.268:
	s_mov_b32 s7, 0
.LBB1_269:                              ; =>This Inner Loop Header: Depth=1
	v_dual_mov_b32 v0, s4 :: v_dual_mov_b32 v1, s5
	s_sleep 1
	global_store_b64 v[9:10], v[2:3], off
	global_wb scope:SCOPE_SYS
	s_wait_storecnt 0x0
	global_atomic_cmpswap_b64 v[0:1], v4, v[0:3], s[2:3] offset:32 th:TH_ATOMIC_RETURN scope:SCOPE_SYS
	s_wait_loadcnt 0x0
	v_cmp_eq_u64_e32 vcc_lo, v[0:1], v[2:3]
	v_dual_mov_b32 v3, v1 :: v_dual_mov_b32 v2, v0
	s_wait_alu 0xfffe
	s_or_b32 s7, vcc_lo, s7
	s_wait_alu 0xfffe
	s_and_not1_b32 exec_lo, exec_lo, s7
	s_cbranch_execnz .LBB1_269
.LBB1_270:
	s_wait_alu 0xfffe
	s_or_b32 exec_lo, exec_lo, s6
	v_mov_b32_e32 v3, 0
	s_mov_b32 s7, exec_lo
	s_mov_b32 s6, exec_lo
	s_wait_alu 0xfffe
	v_mbcnt_lo_u32_b32 v2, s7, 0
	global_load_b64 v[0:1], v3, s[2:3] offset:16
	v_cmpx_eq_u32_e32 0, v2
	s_cbranch_execz .LBB1_272
; %bb.271:
	s_bcnt1_i32_b32 s7, s7
	s_wait_alu 0xfffe
	v_mov_b32_e32 v2, s7
	global_wb scope:SCOPE_SYS
	s_wait_loadcnt 0x0
	s_wait_storecnt 0x0
	global_atomic_add_u64 v[0:1], v[2:3], off offset:8 scope:SCOPE_SYS
.LBB1_272:
	s_or_b32 exec_lo, exec_lo, s6
	s_wait_loadcnt 0x0
	global_load_b64 v[2:3], v[0:1], off offset:16
	s_wait_loadcnt 0x0
	v_cmp_eq_u64_e32 vcc_lo, 0, v[2:3]
	s_cbranch_vccnz .LBB1_274
; %bb.273:
	global_load_b32 v0, v[0:1], off offset:24
	v_mov_b32_e32 v1, 0
	s_wait_loadcnt 0x0
	v_readfirstlane_b32 s6, v0
	global_wb scope:SCOPE_SYS
	s_wait_storecnt 0x0
	global_store_b64 v[2:3], v[0:1], off scope:SCOPE_SYS
	s_and_b32 m0, s6, 0xffffff
	s_sendmsg sendmsg(MSG_INTERRUPT)
.LBB1_274:
	s_wait_alu 0xfffe
	s_or_b32 exec_lo, exec_lo, s1
	s_branch .LBB1_278
.LBB1_275:                              ;   in Loop: Header=BB1_278 Depth=1
	s_wait_alu 0xfffe
	s_or_b32 exec_lo, exec_lo, s1
	s_delay_alu instid0(VALU_DEP_1)
	v_readfirstlane_b32 s1, v0
	s_cmp_eq_u32 s1, 0
	s_cbranch_scc1 .LBB1_277
; %bb.276:                              ;   in Loop: Header=BB1_278 Depth=1
	s_sleep 1
	s_cbranch_execnz .LBB1_278
	s_branch .LBB1_280
.LBB1_277:
	s_branch .LBB1_280
.LBB1_278:                              ; =>This Inner Loop Header: Depth=1
	v_mov_b32_e32 v0, 1
	s_and_saveexec_b32 s1, s0
	s_cbranch_execz .LBB1_275
; %bb.279:                              ;   in Loop: Header=BB1_278 Depth=1
	global_load_b32 v0, v[13:14], off offset:20 scope:SCOPE_SYS
	s_wait_loadcnt 0x0
	global_inv scope:SCOPE_SYS
	v_and_b32_e32 v0, 1, v0
	s_branch .LBB1_275
.LBB1_280:
	global_load_b64 v[0:1], v[15:16], off
	s_and_saveexec_b32 s6, s0
	s_cbranch_execz .LBB1_284
; %bb.281:
	v_mov_b32_e32 v4, 0
	s_clause 0x2
	global_load_b64 v[2:3], v4, s[2:3] offset:40
	global_load_b64 v[13:14], v4, s[2:3] offset:24 scope:SCOPE_SYS
	global_load_b64 v[9:10], v4, s[2:3]
	s_wait_loadcnt 0x2
	v_readfirstlane_b32 s10, v2
	v_readfirstlane_b32 s11, v3
	s_add_nc_u64 s[0:1], s[10:11], 1
	s_wait_alu 0xfffe
	s_add_nc_u64 s[4:5], s[0:1], s[4:5]
	s_wait_alu 0xfffe
	s_cmp_eq_u64 s[4:5], 0
	s_cselect_b32 s1, s1, s5
	s_cselect_b32 s0, s0, s4
	s_wait_alu 0xfffe
	v_mov_b32_e32 v12, s1
	s_and_b64 s[4:5], s[0:1], s[10:11]
	v_mov_b32_e32 v11, s0
	s_wait_alu 0xfffe
	s_mul_u64 s[4:5], s[4:5], 24
	s_wait_loadcnt 0x0
	s_wait_alu 0xfffe
	v_add_co_u32 v2, vcc_lo, v9, s4
	s_wait_alu 0xfffd
	v_add_co_ci_u32_e64 v3, null, s5, v10, vcc_lo
	global_store_b64 v[2:3], v[13:14], off
	global_wb scope:SCOPE_SYS
	s_wait_storecnt 0x0
	global_atomic_cmpswap_b64 v[11:12], v4, v[11:14], s[2:3] offset:24 th:TH_ATOMIC_RETURN scope:SCOPE_SYS
	s_wait_loadcnt 0x0
	v_cmp_ne_u64_e32 vcc_lo, v[11:12], v[13:14]
	s_and_b32 exec_lo, exec_lo, vcc_lo
	s_cbranch_execz .LBB1_284
; %bb.282:
	s_mov_b32 s4, 0
.LBB1_283:                              ; =>This Inner Loop Header: Depth=1
	v_dual_mov_b32 v9, s0 :: v_dual_mov_b32 v10, s1
	s_sleep 1
	global_store_b64 v[2:3], v[11:12], off
	global_wb scope:SCOPE_SYS
	s_wait_storecnt 0x0
	global_atomic_cmpswap_b64 v[9:10], v4, v[9:12], s[2:3] offset:24 th:TH_ATOMIC_RETURN scope:SCOPE_SYS
	s_wait_loadcnt 0x0
	v_cmp_eq_u64_e32 vcc_lo, v[9:10], v[11:12]
	v_dual_mov_b32 v12, v10 :: v_dual_mov_b32 v11, v9
	s_wait_alu 0xfffe
	s_or_b32 s4, vcc_lo, s4
	s_wait_alu 0xfffe
	s_and_not1_b32 exec_lo, exec_lo, s4
	s_cbranch_execnz .LBB1_283
.LBB1_284:
	s_wait_alu 0xfffe
	s_or_b32 exec_lo, exec_lo, s6
	v_dual_mov_b32 v3, v5 :: v_dual_mov_b32 v4, v6
	s_mov_b32 s0, 0
.LBB1_285:                              ; =>This Inner Loop Header: Depth=1
	global_load_u8 v9, v[3:4], off
	v_add_co_u32 v2, vcc_lo, v3, 1
	s_wait_alu 0xfffd
	v_add_co_ci_u32_e64 v3, null, 0, v4, vcc_lo
	s_delay_alu instid0(VALU_DEP_1) | instskip(NEXT) | instid1(VALU_DEP_3)
	v_mov_b32_e32 v4, v3
	v_mov_b32_e32 v3, v2
	s_wait_loadcnt 0x0
	v_cmp_eq_u16_e32 vcc_lo, 0, v9
	s_wait_alu 0xfffe
	s_or_b32 s0, vcc_lo, s0
	s_wait_alu 0xfffe
	s_and_not1_b32 exec_lo, exec_lo, s0
	s_cbranch_execnz .LBB1_285
; %bb.286:
	s_or_b32 exec_lo, exec_lo, s0
	s_delay_alu instid0(SALU_CYCLE_1)
	s_mov_b32 s0, exec_lo
	v_cmpx_ne_u64_e32 0, v[5:6]
	s_wait_alu 0xfffe
	s_xor_b32 s6, exec_lo, s0
	s_cbranch_execz .LBB1_372
; %bb.287:
	v_sub_nc_u32_e32 v29, v2, v5
	v_dual_mov_b32 v11, 2 :: v_dual_and_b32 v4, 2, v0
	v_mov_b32_e32 v10, 0
	v_and_b32_e32 v0, -3, v0
	s_delay_alu instid0(VALU_DEP_4)
	v_ashrrev_i32_e32 v30, 31, v29
	v_mov_b32_e32 v12, 1
	s_mov_b32 s10, 0
	s_mov_b32 s7, 0
	s_branch .LBB1_289
.LBB1_288:                              ;   in Loop: Header=BB1_289 Depth=1
	s_wait_alu 0xfffe
	s_or_b32 exec_lo, exec_lo, s11
	v_sub_co_u32 v29, vcc_lo, v29, v31
	s_wait_alu 0xfffd
	v_sub_co_ci_u32_e64 v30, null, v30, v32, vcc_lo
	v_add_co_u32 v5, s0, v5, v31
	s_wait_alu 0xf1ff
	v_add_co_ci_u32_e64 v6, null, v6, v32, s0
	s_delay_alu instid0(VALU_DEP_3)
	v_cmp_eq_u64_e32 vcc_lo, 0, v[29:30]
	s_or_b32 s7, vcc_lo, s7
	s_wait_alu 0xfffe
	s_and_not1_b32 exec_lo, exec_lo, s7
	s_cbranch_execz .LBB1_371
.LBB1_289:                              ; =>This Loop Header: Depth=1
                                        ;     Child Loop BB1_292 Depth 2
                                        ;     Child Loop BB1_300 Depth 2
	;; [unrolled: 1-line block ×11, first 2 shown]
	v_cmp_gt_u64_e32 vcc_lo, 56, v[29:30]
	s_mov_b32 s1, exec_lo
	s_wait_alu 0xfffd
	v_dual_cndmask_b32 v32, 0, v30 :: v_dual_cndmask_b32 v31, 56, v29
	v_add_co_u32 v15, vcc_lo, v5, 8
	s_wait_alu 0xfffd
	v_add_co_ci_u32_e64 v16, null, 0, v6, vcc_lo
	v_cmpx_gt_u64_e32 8, v[29:30]
	s_wait_alu 0xfffe
	s_xor_b32 s1, exec_lo, s1
	s_cbranch_execz .LBB1_295
; %bb.290:                              ;   in Loop: Header=BB1_289 Depth=1
	v_mov_b32_e32 v2, 0
	v_mov_b32_e32 v3, 0
	s_mov_b32 s11, exec_lo
	v_cmpx_ne_u64_e32 0, v[29:30]
	s_cbranch_execz .LBB1_294
; %bb.291:                              ;   in Loop: Header=BB1_289 Depth=1
	v_lshlrev_b64_e32 v[13:14], 3, v[31:32]
	v_dual_mov_b32 v2, 0 :: v_dual_mov_b32 v15, v6
	v_dual_mov_b32 v3, 0 :: v_dual_mov_b32 v14, v5
	s_mov_b64 s[4:5], 0
	s_mov_b32 s12, 0
.LBB1_292:                              ;   Parent Loop BB1_289 Depth=1
                                        ; =>  This Inner Loop Header: Depth=2
	global_load_u8 v9, v[14:15], off
	v_mov_b32_e32 v17, s10
	v_add_co_u32 v14, vcc_lo, v14, 1
	s_wait_alu 0xfffd
	v_add_co_ci_u32_e64 v15, null, 0, v15, vcc_lo
	s_wait_loadcnt 0x0
	v_and_b32_e32 v16, 0xffff, v9
	s_wait_alu 0xfffe
	s_delay_alu instid0(VALU_DEP_1) | instskip(SKIP_3) | instid1(VALU_DEP_2)
	v_lshlrev_b64_e32 v[16:17], s4, v[16:17]
	s_add_nc_u64 s[4:5], s[4:5], 8
	s_wait_alu 0xfffe
	v_cmp_eq_u32_e64 s0, s4, v13
	v_or_b32_e32 v3, v17, v3
	s_delay_alu instid0(VALU_DEP_3)
	v_or_b32_e32 v2, v16, v2
	s_or_b32 s12, s0, s12
	s_wait_alu 0xfffe
	s_and_not1_b32 exec_lo, exec_lo, s12
	s_cbranch_execnz .LBB1_292
; %bb.293:                              ;   in Loop: Header=BB1_289 Depth=1
	s_or_b32 exec_lo, exec_lo, s12
.LBB1_294:                              ;   in Loop: Header=BB1_289 Depth=1
	s_wait_alu 0xfffe
	s_or_b32 exec_lo, exec_lo, s11
	v_dual_mov_b32 v16, v6 :: v_dual_mov_b32 v15, v5
.LBB1_295:                              ;   in Loop: Header=BB1_289 Depth=1
	s_wait_alu 0xfffe
	s_or_saveexec_b32 s0, s1
	v_mov_b32_e32 v9, 0
	s_wait_alu 0xfffe
	s_xor_b32 exec_lo, exec_lo, s0
	s_cbranch_execz .LBB1_297
; %bb.296:                              ;   in Loop: Header=BB1_289 Depth=1
	global_load_b64 v[2:3], v[5:6], off
	v_add_nc_u32_e32 v9, -8, v31
.LBB1_297:                              ;   in Loop: Header=BB1_289 Depth=1
	s_or_b32 exec_lo, exec_lo, s0
	v_add_co_u32 v17, s0, v15, 8
	s_wait_alu 0xf1ff
	v_add_co_ci_u32_e64 v18, null, 0, v16, s0
                                        ; implicit-def: $vgpr13_vgpr14
	s_mov_b32 s0, exec_lo
	v_cmpx_gt_u32_e32 8, v9
	s_wait_alu 0xfffe
	s_xor_b32 s11, exec_lo, s0
	s_cbranch_execz .LBB1_303
; %bb.298:                              ;   in Loop: Header=BB1_289 Depth=1
	v_mov_b32_e32 v13, 0
	v_mov_b32_e32 v14, 0
	s_mov_b32 s12, exec_lo
	v_cmpx_ne_u32_e32 0, v9
	s_cbranch_execz .LBB1_302
; %bb.299:                              ;   in Loop: Header=BB1_289 Depth=1
	v_mov_b32_e32 v13, 0
	v_mov_b32_e32 v14, 0
	s_mov_b64 s[0:1], 0
	s_mov_b32 s13, 0
	s_mov_b64 s[4:5], 0
.LBB1_300:                              ;   Parent Loop BB1_289 Depth=1
                                        ; =>  This Inner Loop Header: Depth=2
	s_wait_alu 0xfffe
	v_add_co_u32 v17, vcc_lo, v15, s4
	s_wait_alu 0xfffd
	v_add_co_ci_u32_e64 v18, null, s5, v16, vcc_lo
	s_add_nc_u64 s[4:5], s[4:5], 1
	s_wait_alu 0xfffe
	v_cmp_eq_u32_e32 vcc_lo, s4, v9
	global_load_u8 v17, v[17:18], off
	v_mov_b32_e32 v18, s10
	s_or_b32 s13, vcc_lo, s13
	s_wait_loadcnt 0x0
	v_and_b32_e32 v17, 0xffff, v17
	s_delay_alu instid0(VALU_DEP_1) | instskip(SKIP_1) | instid1(VALU_DEP_1)
	v_lshlrev_b64_e32 v[17:18], s0, v[17:18]
	s_add_nc_u64 s[0:1], s[0:1], 8
	v_or_b32_e32 v14, v18, v14
	s_delay_alu instid0(VALU_DEP_2)
	v_or_b32_e32 v13, v17, v13
	s_wait_alu 0xfffe
	s_and_not1_b32 exec_lo, exec_lo, s13
	s_cbranch_execnz .LBB1_300
; %bb.301:                              ;   in Loop: Header=BB1_289 Depth=1
	s_or_b32 exec_lo, exec_lo, s13
.LBB1_302:                              ;   in Loop: Header=BB1_289 Depth=1
	s_wait_alu 0xfffe
	s_or_b32 exec_lo, exec_lo, s12
	v_dual_mov_b32 v18, v16 :: v_dual_mov_b32 v17, v15
                                        ; implicit-def: $vgpr9
.LBB1_303:                              ;   in Loop: Header=BB1_289 Depth=1
	s_wait_alu 0xfffe
	s_or_saveexec_b32 s0, s11
	v_mov_b32_e32 v21, 0
	s_wait_alu 0xfffe
	s_xor_b32 exec_lo, exec_lo, s0
	s_cbranch_execz .LBB1_305
; %bb.304:                              ;   in Loop: Header=BB1_289 Depth=1
	global_load_b64 v[13:14], v[15:16], off
	v_add_nc_u32_e32 v21, -8, v9
.LBB1_305:                              ;   in Loop: Header=BB1_289 Depth=1
	s_or_b32 exec_lo, exec_lo, s0
	v_add_co_u32 v19, s0, v17, 8
	s_wait_alu 0xf1ff
	v_add_co_ci_u32_e64 v20, null, 0, v18, s0
	s_mov_b32 s0, exec_lo
	v_cmpx_gt_u32_e32 8, v21
	s_wait_alu 0xfffe
	s_xor_b32 s11, exec_lo, s0
	s_cbranch_execz .LBB1_311
; %bb.306:                              ;   in Loop: Header=BB1_289 Depth=1
	v_mov_b32_e32 v15, 0
	v_mov_b32_e32 v16, 0
	s_mov_b32 s12, exec_lo
	v_cmpx_ne_u32_e32 0, v21
	s_cbranch_execz .LBB1_310
; %bb.307:                              ;   in Loop: Header=BB1_289 Depth=1
	v_mov_b32_e32 v15, 0
	v_mov_b32_e32 v16, 0
	s_mov_b64 s[0:1], 0
	s_mov_b32 s13, 0
	s_mov_b64 s[4:5], 0
.LBB1_308:                              ;   Parent Loop BB1_289 Depth=1
                                        ; =>  This Inner Loop Header: Depth=2
	s_wait_alu 0xfffe
	v_add_co_u32 v19, vcc_lo, v17, s4
	s_wait_alu 0xfffd
	v_add_co_ci_u32_e64 v20, null, s5, v18, vcc_lo
	s_add_nc_u64 s[4:5], s[4:5], 1
	s_wait_alu 0xfffe
	v_cmp_eq_u32_e32 vcc_lo, s4, v21
	global_load_u8 v9, v[19:20], off
	v_mov_b32_e32 v20, s10
	s_or_b32 s13, vcc_lo, s13
	s_wait_loadcnt 0x0
	v_and_b32_e32 v19, 0xffff, v9
	s_delay_alu instid0(VALU_DEP_1) | instskip(SKIP_1) | instid1(VALU_DEP_1)
	v_lshlrev_b64_e32 v[19:20], s0, v[19:20]
	s_add_nc_u64 s[0:1], s[0:1], 8
	v_or_b32_e32 v16, v20, v16
	s_delay_alu instid0(VALU_DEP_2)
	v_or_b32_e32 v15, v19, v15
	s_wait_alu 0xfffe
	s_and_not1_b32 exec_lo, exec_lo, s13
	s_cbranch_execnz .LBB1_308
; %bb.309:                              ;   in Loop: Header=BB1_289 Depth=1
	s_or_b32 exec_lo, exec_lo, s13
.LBB1_310:                              ;   in Loop: Header=BB1_289 Depth=1
	s_wait_alu 0xfffe
	s_or_b32 exec_lo, exec_lo, s12
	v_dual_mov_b32 v20, v18 :: v_dual_mov_b32 v19, v17
                                        ; implicit-def: $vgpr21
.LBB1_311:                              ;   in Loop: Header=BB1_289 Depth=1
	s_wait_alu 0xfffe
	s_or_saveexec_b32 s0, s11
	v_mov_b32_e32 v9, 0
	s_wait_alu 0xfffe
	s_xor_b32 exec_lo, exec_lo, s0
	s_cbranch_execz .LBB1_313
; %bb.312:                              ;   in Loop: Header=BB1_289 Depth=1
	global_load_b64 v[15:16], v[17:18], off
	v_add_nc_u32_e32 v9, -8, v21
.LBB1_313:                              ;   in Loop: Header=BB1_289 Depth=1
	s_or_b32 exec_lo, exec_lo, s0
	v_add_co_u32 v21, s0, v19, 8
	s_wait_alu 0xf1ff
	v_add_co_ci_u32_e64 v22, null, 0, v20, s0
                                        ; implicit-def: $vgpr17_vgpr18
	s_mov_b32 s0, exec_lo
	v_cmpx_gt_u32_e32 8, v9
	s_wait_alu 0xfffe
	s_xor_b32 s11, exec_lo, s0
	s_cbranch_execz .LBB1_319
; %bb.314:                              ;   in Loop: Header=BB1_289 Depth=1
	v_mov_b32_e32 v17, 0
	v_mov_b32_e32 v18, 0
	s_mov_b32 s12, exec_lo
	v_cmpx_ne_u32_e32 0, v9
	s_cbranch_execz .LBB1_318
; %bb.315:                              ;   in Loop: Header=BB1_289 Depth=1
	v_mov_b32_e32 v17, 0
	v_mov_b32_e32 v18, 0
	s_mov_b64 s[0:1], 0
	s_mov_b32 s13, 0
	s_mov_b64 s[4:5], 0
.LBB1_316:                              ;   Parent Loop BB1_289 Depth=1
                                        ; =>  This Inner Loop Header: Depth=2
	s_wait_alu 0xfffe
	v_add_co_u32 v21, vcc_lo, v19, s4
	s_wait_alu 0xfffd
	v_add_co_ci_u32_e64 v22, null, s5, v20, vcc_lo
	s_add_nc_u64 s[4:5], s[4:5], 1
	s_wait_alu 0xfffe
	v_cmp_eq_u32_e32 vcc_lo, s4, v9
	global_load_u8 v21, v[21:22], off
	v_mov_b32_e32 v22, s10
	s_or_b32 s13, vcc_lo, s13
	s_wait_loadcnt 0x0
	v_and_b32_e32 v21, 0xffff, v21
	s_delay_alu instid0(VALU_DEP_1) | instskip(SKIP_1) | instid1(VALU_DEP_1)
	v_lshlrev_b64_e32 v[21:22], s0, v[21:22]
	s_add_nc_u64 s[0:1], s[0:1], 8
	v_or_b32_e32 v18, v22, v18
	s_delay_alu instid0(VALU_DEP_2)
	v_or_b32_e32 v17, v21, v17
	s_wait_alu 0xfffe
	s_and_not1_b32 exec_lo, exec_lo, s13
	s_cbranch_execnz .LBB1_316
; %bb.317:                              ;   in Loop: Header=BB1_289 Depth=1
	s_or_b32 exec_lo, exec_lo, s13
.LBB1_318:                              ;   in Loop: Header=BB1_289 Depth=1
	s_wait_alu 0xfffe
	s_or_b32 exec_lo, exec_lo, s12
	v_dual_mov_b32 v22, v20 :: v_dual_mov_b32 v21, v19
                                        ; implicit-def: $vgpr9
.LBB1_319:                              ;   in Loop: Header=BB1_289 Depth=1
	s_wait_alu 0xfffe
	s_or_saveexec_b32 s0, s11
	v_mov_b32_e32 v25, 0
	s_wait_alu 0xfffe
	s_xor_b32 exec_lo, exec_lo, s0
	s_cbranch_execz .LBB1_321
; %bb.320:                              ;   in Loop: Header=BB1_289 Depth=1
	global_load_b64 v[17:18], v[19:20], off
	v_add_nc_u32_e32 v25, -8, v9
.LBB1_321:                              ;   in Loop: Header=BB1_289 Depth=1
	s_or_b32 exec_lo, exec_lo, s0
	v_add_co_u32 v23, s0, v21, 8
	s_wait_alu 0xf1ff
	v_add_co_ci_u32_e64 v24, null, 0, v22, s0
	s_mov_b32 s0, exec_lo
	v_cmpx_gt_u32_e32 8, v25
	s_wait_alu 0xfffe
	s_xor_b32 s11, exec_lo, s0
	s_cbranch_execz .LBB1_327
; %bb.322:                              ;   in Loop: Header=BB1_289 Depth=1
	v_mov_b32_e32 v19, 0
	v_mov_b32_e32 v20, 0
	s_mov_b32 s12, exec_lo
	v_cmpx_ne_u32_e32 0, v25
	s_cbranch_execz .LBB1_326
; %bb.323:                              ;   in Loop: Header=BB1_289 Depth=1
	v_mov_b32_e32 v19, 0
	v_mov_b32_e32 v20, 0
	s_mov_b64 s[0:1], 0
	s_mov_b32 s13, 0
	s_mov_b64 s[4:5], 0
.LBB1_324:                              ;   Parent Loop BB1_289 Depth=1
                                        ; =>  This Inner Loop Header: Depth=2
	s_wait_alu 0xfffe
	v_add_co_u32 v23, vcc_lo, v21, s4
	s_wait_alu 0xfffd
	v_add_co_ci_u32_e64 v24, null, s5, v22, vcc_lo
	s_add_nc_u64 s[4:5], s[4:5], 1
	s_wait_alu 0xfffe
	v_cmp_eq_u32_e32 vcc_lo, s4, v25
	global_load_u8 v9, v[23:24], off
	v_mov_b32_e32 v24, s10
	s_or_b32 s13, vcc_lo, s13
	s_wait_loadcnt 0x0
	v_and_b32_e32 v23, 0xffff, v9
	s_delay_alu instid0(VALU_DEP_1) | instskip(SKIP_1) | instid1(VALU_DEP_1)
	v_lshlrev_b64_e32 v[23:24], s0, v[23:24]
	s_add_nc_u64 s[0:1], s[0:1], 8
	v_or_b32_e32 v20, v24, v20
	s_delay_alu instid0(VALU_DEP_2)
	v_or_b32_e32 v19, v23, v19
	s_wait_alu 0xfffe
	s_and_not1_b32 exec_lo, exec_lo, s13
	s_cbranch_execnz .LBB1_324
; %bb.325:                              ;   in Loop: Header=BB1_289 Depth=1
	s_or_b32 exec_lo, exec_lo, s13
.LBB1_326:                              ;   in Loop: Header=BB1_289 Depth=1
	s_wait_alu 0xfffe
	s_or_b32 exec_lo, exec_lo, s12
	v_dual_mov_b32 v24, v22 :: v_dual_mov_b32 v23, v21
                                        ; implicit-def: $vgpr25
.LBB1_327:                              ;   in Loop: Header=BB1_289 Depth=1
	s_wait_alu 0xfffe
	s_or_saveexec_b32 s0, s11
	v_mov_b32_e32 v9, 0
	s_wait_alu 0xfffe
	s_xor_b32 exec_lo, exec_lo, s0
	s_cbranch_execz .LBB1_329
; %bb.328:                              ;   in Loop: Header=BB1_289 Depth=1
	global_load_b64 v[19:20], v[21:22], off
	v_add_nc_u32_e32 v9, -8, v25
.LBB1_329:                              ;   in Loop: Header=BB1_289 Depth=1
	s_or_b32 exec_lo, exec_lo, s0
	v_add_co_u32 v25, s0, v23, 8
	s_wait_alu 0xf1ff
	v_add_co_ci_u32_e64 v26, null, 0, v24, s0
                                        ; implicit-def: $vgpr21_vgpr22
	s_mov_b32 s0, exec_lo
	v_cmpx_gt_u32_e32 8, v9
	s_wait_alu 0xfffe
	s_xor_b32 s11, exec_lo, s0
	s_cbranch_execz .LBB1_335
; %bb.330:                              ;   in Loop: Header=BB1_289 Depth=1
	v_mov_b32_e32 v21, 0
	v_mov_b32_e32 v22, 0
	s_mov_b32 s12, exec_lo
	v_cmpx_ne_u32_e32 0, v9
	s_cbranch_execz .LBB1_334
; %bb.331:                              ;   in Loop: Header=BB1_289 Depth=1
	v_mov_b32_e32 v21, 0
	v_mov_b32_e32 v22, 0
	s_mov_b64 s[0:1], 0
	s_mov_b32 s13, 0
	s_mov_b64 s[4:5], 0
.LBB1_332:                              ;   Parent Loop BB1_289 Depth=1
                                        ; =>  This Inner Loop Header: Depth=2
	s_wait_alu 0xfffe
	v_add_co_u32 v25, vcc_lo, v23, s4
	s_wait_alu 0xfffd
	v_add_co_ci_u32_e64 v26, null, s5, v24, vcc_lo
	s_add_nc_u64 s[4:5], s[4:5], 1
	s_wait_alu 0xfffe
	v_cmp_eq_u32_e32 vcc_lo, s4, v9
	global_load_u8 v25, v[25:26], off
	v_mov_b32_e32 v26, s10
	s_or_b32 s13, vcc_lo, s13
	s_wait_loadcnt 0x0
	v_and_b32_e32 v25, 0xffff, v25
	s_delay_alu instid0(VALU_DEP_1) | instskip(SKIP_1) | instid1(VALU_DEP_1)
	v_lshlrev_b64_e32 v[25:26], s0, v[25:26]
	s_add_nc_u64 s[0:1], s[0:1], 8
	v_or_b32_e32 v22, v26, v22
	s_delay_alu instid0(VALU_DEP_2)
	v_or_b32_e32 v21, v25, v21
	s_wait_alu 0xfffe
	s_and_not1_b32 exec_lo, exec_lo, s13
	s_cbranch_execnz .LBB1_332
; %bb.333:                              ;   in Loop: Header=BB1_289 Depth=1
	s_or_b32 exec_lo, exec_lo, s13
.LBB1_334:                              ;   in Loop: Header=BB1_289 Depth=1
	s_wait_alu 0xfffe
	s_or_b32 exec_lo, exec_lo, s12
	v_dual_mov_b32 v26, v24 :: v_dual_mov_b32 v25, v23
                                        ; implicit-def: $vgpr9
.LBB1_335:                              ;   in Loop: Header=BB1_289 Depth=1
	s_wait_alu 0xfffe
	s_or_saveexec_b32 s0, s11
	v_mov_b32_e32 v27, 0
	s_wait_alu 0xfffe
	s_xor_b32 exec_lo, exec_lo, s0
	s_cbranch_execz .LBB1_337
; %bb.336:                              ;   in Loop: Header=BB1_289 Depth=1
	global_load_b64 v[21:22], v[23:24], off
	v_add_nc_u32_e32 v27, -8, v9
.LBB1_337:                              ;   in Loop: Header=BB1_289 Depth=1
	s_or_b32 exec_lo, exec_lo, s0
	s_delay_alu instid0(SALU_CYCLE_1) | instskip(NEXT) | instid1(VALU_DEP_1)
	s_mov_b32 s0, exec_lo
	v_cmpx_gt_u32_e32 8, v27
	s_wait_alu 0xfffe
	s_xor_b32 s1, exec_lo, s0
	s_cbranch_execz .LBB1_343
; %bb.338:                              ;   in Loop: Header=BB1_289 Depth=1
	v_mov_b32_e32 v23, 0
	v_mov_b32_e32 v24, 0
	s_mov_b32 s11, exec_lo
	v_cmpx_ne_u32_e32 0, v27
	s_cbranch_execz .LBB1_342
; %bb.339:                              ;   in Loop: Header=BB1_289 Depth=1
	v_mov_b32_e32 v23, 0
	v_mov_b32_e32 v24, 0
	s_mov_b64 s[4:5], 0
	s_mov_b32 s12, 0
.LBB1_340:                              ;   Parent Loop BB1_289 Depth=1
                                        ; =>  This Inner Loop Header: Depth=2
	global_load_u8 v9, v[25:26], off
	v_dual_mov_b32 v34, s10 :: v_dual_add_nc_u32 v27, -1, v27
	v_add_co_u32 v25, vcc_lo, v25, 1
	s_wait_alu 0xfffd
	v_add_co_ci_u32_e64 v26, null, 0, v26, vcc_lo
	s_delay_alu instid0(VALU_DEP_3) | instskip(SKIP_4) | instid1(VALU_DEP_1)
	v_cmp_eq_u32_e64 s0, 0, v27
	s_wait_alu 0xfffe
	s_or_b32 s12, s0, s12
	s_wait_loadcnt 0x0
	v_and_b32_e32 v33, 0xffff, v9
	v_lshlrev_b64_e32 v[33:34], s4, v[33:34]
	s_add_nc_u64 s[4:5], s[4:5], 8
	s_delay_alu instid0(VALU_DEP_1) | instskip(NEXT) | instid1(VALU_DEP_2)
	v_or_b32_e32 v24, v34, v24
	v_or_b32_e32 v23, v33, v23
	s_wait_alu 0xfffe
	s_and_not1_b32 exec_lo, exec_lo, s12
	s_cbranch_execnz .LBB1_340
; %bb.341:                              ;   in Loop: Header=BB1_289 Depth=1
	s_or_b32 exec_lo, exec_lo, s12
.LBB1_342:                              ;   in Loop: Header=BB1_289 Depth=1
	s_wait_alu 0xfffe
	s_or_b32 exec_lo, exec_lo, s11
                                        ; implicit-def: $vgpr25_vgpr26
.LBB1_343:                              ;   in Loop: Header=BB1_289 Depth=1
	s_wait_alu 0xfffe
	s_and_not1_saveexec_b32 s0, s1
	s_cbranch_execz .LBB1_345
; %bb.344:                              ;   in Loop: Header=BB1_289 Depth=1
	global_load_b64 v[23:24], v[25:26], off
.LBB1_345:                              ;   in Loop: Header=BB1_289 Depth=1
	s_wait_alu 0xfffe
	s_or_b32 exec_lo, exec_lo, s0
	v_readfirstlane_b32 s0, v50
	v_mov_b32_e32 v33, 0
	v_mov_b32_e32 v34, 0
	s_wait_alu 0xf1ff
	s_delay_alu instid0(VALU_DEP_3)
	v_cmp_eq_u32_e64 s0, s0, v50
	s_and_saveexec_b32 s1, s0
	s_cbranch_execz .LBB1_351
; %bb.346:                              ;   in Loop: Header=BB1_289 Depth=1
	global_load_b64 v[27:28], v10, s[2:3] offset:24 scope:SCOPE_SYS
	s_wait_loadcnt 0x0
	global_inv scope:SCOPE_SYS
	s_clause 0x1
	global_load_b64 v[25:26], v10, s[2:3] offset:40
	global_load_b64 v[33:34], v10, s[2:3]
	s_mov_b32 s4, exec_lo
	s_wait_loadcnt 0x1
	v_and_b32_e32 v9, v26, v28
	v_and_b32_e32 v25, v25, v27
	s_delay_alu instid0(VALU_DEP_2) | instskip(NEXT) | instid1(VALU_DEP_2)
	v_mul_lo_u32 v9, 24, v9
	v_mul_lo_u32 v26, 0, v25
	v_mul_hi_u32 v35, 24, v25
	v_mul_lo_u32 v25, 24, v25
	s_delay_alu instid0(VALU_DEP_3) | instskip(SKIP_1) | instid1(VALU_DEP_2)
	v_add_nc_u32_e32 v9, v9, v26
	s_wait_loadcnt 0x0
	v_add_co_u32 v25, vcc_lo, v33, v25
	s_delay_alu instid0(VALU_DEP_2) | instskip(SKIP_1) | instid1(VALU_DEP_1)
	v_add_nc_u32_e32 v9, v9, v35
	s_wait_alu 0xfffd
	v_add_co_ci_u32_e64 v26, null, v34, v9, vcc_lo
	global_load_b64 v[25:26], v[25:26], off scope:SCOPE_SYS
	s_wait_loadcnt 0x0
	global_atomic_cmpswap_b64 v[33:34], v10, v[25:28], s[2:3] offset:24 th:TH_ATOMIC_RETURN scope:SCOPE_SYS
	s_wait_loadcnt 0x0
	global_inv scope:SCOPE_SYS
	v_cmpx_ne_u64_e64 v[33:34], v[27:28]
	s_cbranch_execz .LBB1_350
; %bb.347:                              ;   in Loop: Header=BB1_289 Depth=1
	s_mov_b32 s5, 0
.LBB1_348:                              ;   Parent Loop BB1_289 Depth=1
                                        ; =>  This Inner Loop Header: Depth=2
	s_sleep 1
	s_clause 0x1
	global_load_b64 v[25:26], v10, s[2:3] offset:40
	global_load_b64 v[35:36], v10, s[2:3]
	v_dual_mov_b32 v27, v33 :: v_dual_mov_b32 v28, v34
	s_wait_loadcnt 0x1
	s_delay_alu instid0(VALU_DEP_1) | instskip(NEXT) | instid1(VALU_DEP_2)
	v_and_b32_e32 v9, v25, v27
	v_and_b32_e32 v25, v26, v28
	s_wait_loadcnt 0x0
	s_delay_alu instid0(VALU_DEP_2) | instskip(NEXT) | instid1(VALU_DEP_1)
	v_mad_co_u64_u32 v[33:34], null, v9, 24, v[35:36]
	v_mov_b32_e32 v9, v34
	s_delay_alu instid0(VALU_DEP_1) | instskip(NEXT) | instid1(VALU_DEP_1)
	v_mad_co_u64_u32 v[25:26], null, v25, 24, v[9:10]
	v_mov_b32_e32 v34, v25
	global_load_b64 v[25:26], v[33:34], off scope:SCOPE_SYS
	s_wait_loadcnt 0x0
	global_atomic_cmpswap_b64 v[33:34], v10, v[25:28], s[2:3] offset:24 th:TH_ATOMIC_RETURN scope:SCOPE_SYS
	s_wait_loadcnt 0x0
	global_inv scope:SCOPE_SYS
	v_cmp_eq_u64_e32 vcc_lo, v[33:34], v[27:28]
	s_wait_alu 0xfffe
	s_or_b32 s5, vcc_lo, s5
	s_wait_alu 0xfffe
	s_and_not1_b32 exec_lo, exec_lo, s5
	s_cbranch_execnz .LBB1_348
; %bb.349:                              ;   in Loop: Header=BB1_289 Depth=1
	s_or_b32 exec_lo, exec_lo, s5
.LBB1_350:                              ;   in Loop: Header=BB1_289 Depth=1
	s_wait_alu 0xfffe
	s_or_b32 exec_lo, exec_lo, s4
.LBB1_351:                              ;   in Loop: Header=BB1_289 Depth=1
	s_wait_alu 0xfffe
	s_or_b32 exec_lo, exec_lo, s1
	s_clause 0x1
	global_load_b64 v[35:36], v10, s[2:3] offset:40
	global_load_b128 v[25:28], v10, s[2:3]
	v_readfirstlane_b32 s5, v34
	v_readfirstlane_b32 s4, v33
	s_mov_b32 s1, exec_lo
	s_wait_loadcnt 0x1
	s_wait_alu 0xf1ff
	v_and_b32_e32 v36, s5, v36
	v_and_b32_e32 v35, s4, v35
	s_delay_alu instid0(VALU_DEP_2) | instskip(NEXT) | instid1(VALU_DEP_2)
	v_mul_lo_u32 v9, 24, v36
	v_mul_lo_u32 v33, 0, v35
	v_mul_hi_u32 v34, 24, v35
	v_mul_lo_u32 v37, 24, v35
	s_delay_alu instid0(VALU_DEP_3) | instskip(SKIP_1) | instid1(VALU_DEP_2)
	v_add_nc_u32_e32 v9, v9, v33
	s_wait_loadcnt 0x0
	v_add_co_u32 v33, vcc_lo, v25, v37
	s_delay_alu instid0(VALU_DEP_2) | instskip(SKIP_1) | instid1(VALU_DEP_1)
	v_add_nc_u32_e32 v9, v9, v34
	s_wait_alu 0xfffd
	v_add_co_ci_u32_e64 v34, null, v26, v9, vcc_lo
	s_and_saveexec_b32 s11, s0
	s_cbranch_execz .LBB1_353
; %bb.352:                              ;   in Loop: Header=BB1_289 Depth=1
	s_wait_alu 0xfffe
	v_mov_b32_e32 v9, s1
	global_store_b128 v[33:34], v[9:12], off offset:8
.LBB1_353:                              ;   in Loop: Header=BB1_289 Depth=1
	s_wait_alu 0xfffe
	s_or_b32 exec_lo, exec_lo, s11
	v_cmp_gt_u64_e32 vcc_lo, 57, v[29:30]
	v_lshlrev_b64_e32 v[35:36], 12, v[35:36]
	v_and_b32_e32 v0, 0xffffff1f, v0
	v_lshl_add_u32 v37, v31, 2, 28
	s_wait_alu 0xfffd
	v_cndmask_b32_e32 v9, 0, v4, vcc_lo
	s_delay_alu instid0(VALU_DEP_4) | instskip(SKIP_2) | instid1(VALU_DEP_3)
	v_add_co_u32 v27, vcc_lo, v27, v35
	s_wait_alu 0xfffd
	v_add_co_ci_u32_e64 v28, null, v28, v36, vcc_lo
	v_or_b32_e32 v0, v0, v9
	s_delay_alu instid0(VALU_DEP_3) | instskip(NEXT) | instid1(VALU_DEP_3)
	v_readfirstlane_b32 s12, v27
	v_readfirstlane_b32 s13, v28
	s_delay_alu instid0(VALU_DEP_3)
	v_and_or_b32 v0, 0x1e0, v37, v0
	s_clause 0x3
	global_store_b128 v39, v[0:3], s[12:13]
	global_store_b128 v39, v[13:16], s[12:13] offset:16
	global_store_b128 v39, v[17:20], s[12:13] offset:32
	;; [unrolled: 1-line block ×3, first 2 shown]
	s_and_saveexec_b32 s1, s0
	s_cbranch_execz .LBB1_361
; %bb.354:                              ;   in Loop: Header=BB1_289 Depth=1
	s_clause 0x1
	global_load_b64 v[17:18], v10, s[2:3] offset:32 scope:SCOPE_SYS
	global_load_b64 v[0:1], v10, s[2:3] offset:40
	s_mov_b32 s11, exec_lo
	v_dual_mov_b32 v15, s4 :: v_dual_mov_b32 v16, s5
	s_wait_loadcnt 0x0
	v_and_b32_e32 v1, s5, v1
	v_and_b32_e32 v0, s4, v0
	s_delay_alu instid0(VALU_DEP_2) | instskip(NEXT) | instid1(VALU_DEP_2)
	v_mul_lo_u32 v1, 24, v1
	v_mul_lo_u32 v2, 0, v0
	v_mul_hi_u32 v3, 24, v0
	v_mul_lo_u32 v0, 24, v0
	s_delay_alu instid0(VALU_DEP_3) | instskip(NEXT) | instid1(VALU_DEP_2)
	v_add_nc_u32_e32 v1, v1, v2
	v_add_co_u32 v13, vcc_lo, v25, v0
	s_delay_alu instid0(VALU_DEP_2) | instskip(SKIP_1) | instid1(VALU_DEP_1)
	v_add_nc_u32_e32 v1, v1, v3
	s_wait_alu 0xfffd
	v_add_co_ci_u32_e64 v14, null, v26, v1, vcc_lo
	global_store_b64 v[13:14], v[17:18], off
	global_wb scope:SCOPE_SYS
	s_wait_storecnt 0x0
	global_atomic_cmpswap_b64 v[2:3], v10, v[15:18], s[2:3] offset:32 th:TH_ATOMIC_RETURN scope:SCOPE_SYS
	s_wait_loadcnt 0x0
	v_cmpx_ne_u64_e64 v[2:3], v[17:18]
	s_cbranch_execz .LBB1_357
; %bb.355:                              ;   in Loop: Header=BB1_289 Depth=1
	s_mov_b32 s12, 0
.LBB1_356:                              ;   Parent Loop BB1_289 Depth=1
                                        ; =>  This Inner Loop Header: Depth=2
	v_dual_mov_b32 v0, s4 :: v_dual_mov_b32 v1, s5
	s_sleep 1
	global_store_b64 v[13:14], v[2:3], off
	global_wb scope:SCOPE_SYS
	s_wait_storecnt 0x0
	global_atomic_cmpswap_b64 v[0:1], v10, v[0:3], s[2:3] offset:32 th:TH_ATOMIC_RETURN scope:SCOPE_SYS
	s_wait_loadcnt 0x0
	v_cmp_eq_u64_e32 vcc_lo, v[0:1], v[2:3]
	v_dual_mov_b32 v3, v1 :: v_dual_mov_b32 v2, v0
	s_wait_alu 0xfffe
	s_or_b32 s12, vcc_lo, s12
	s_wait_alu 0xfffe
	s_and_not1_b32 exec_lo, exec_lo, s12
	s_cbranch_execnz .LBB1_356
.LBB1_357:                              ;   in Loop: Header=BB1_289 Depth=1
	s_wait_alu 0xfffe
	s_or_b32 exec_lo, exec_lo, s11
	global_load_b64 v[0:1], v10, s[2:3] offset:16
	s_mov_b32 s12, exec_lo
	s_mov_b32 s11, exec_lo
	s_wait_alu 0xfffe
	v_mbcnt_lo_u32_b32 v2, s12, 0
	s_delay_alu instid0(VALU_DEP_1)
	v_cmpx_eq_u32_e32 0, v2
	s_cbranch_execz .LBB1_359
; %bb.358:                              ;   in Loop: Header=BB1_289 Depth=1
	s_bcnt1_i32_b32 s12, s12
	s_wait_alu 0xfffe
	v_mov_b32_e32 v9, s12
	global_wb scope:SCOPE_SYS
	s_wait_loadcnt 0x0
	s_wait_storecnt 0x0
	global_atomic_add_u64 v[0:1], v[9:10], off offset:8 scope:SCOPE_SYS
.LBB1_359:                              ;   in Loop: Header=BB1_289 Depth=1
	s_or_b32 exec_lo, exec_lo, s11
	s_wait_loadcnt 0x0
	global_load_b64 v[2:3], v[0:1], off offset:16
	s_wait_loadcnt 0x0
	v_cmp_eq_u64_e32 vcc_lo, 0, v[2:3]
	s_cbranch_vccnz .LBB1_361
; %bb.360:                              ;   in Loop: Header=BB1_289 Depth=1
	global_load_b32 v9, v[0:1], off offset:24
	s_wait_loadcnt 0x0
	v_readfirstlane_b32 s11, v9
	global_wb scope:SCOPE_SYS
	s_wait_storecnt 0x0
	global_store_b64 v[2:3], v[9:10], off scope:SCOPE_SYS
	s_and_b32 m0, s11, 0xffffff
	s_sendmsg sendmsg(MSG_INTERRUPT)
.LBB1_361:                              ;   in Loop: Header=BB1_289 Depth=1
	s_wait_alu 0xfffe
	s_or_b32 exec_lo, exec_lo, s1
	v_add_co_u32 v0, vcc_lo, v27, v39
	s_wait_alu 0xfffd
	v_add_co_ci_u32_e64 v1, null, 0, v28, vcc_lo
	s_branch .LBB1_365
.LBB1_362:                              ;   in Loop: Header=BB1_365 Depth=2
	s_wait_alu 0xfffe
	s_or_b32 exec_lo, exec_lo, s1
	s_delay_alu instid0(VALU_DEP_1)
	v_readfirstlane_b32 s1, v2
	s_cmp_eq_u32 s1, 0
	s_cbranch_scc1 .LBB1_364
; %bb.363:                              ;   in Loop: Header=BB1_365 Depth=2
	s_sleep 1
	s_cbranch_execnz .LBB1_365
	s_branch .LBB1_367
.LBB1_364:                              ;   in Loop: Header=BB1_289 Depth=1
	s_branch .LBB1_367
.LBB1_365:                              ;   Parent Loop BB1_289 Depth=1
                                        ; =>  This Inner Loop Header: Depth=2
	v_mov_b32_e32 v2, 1
	s_and_saveexec_b32 s1, s0
	s_cbranch_execz .LBB1_362
; %bb.366:                              ;   in Loop: Header=BB1_365 Depth=2
	global_load_b32 v2, v[33:34], off offset:20 scope:SCOPE_SYS
	s_wait_loadcnt 0x0
	global_inv scope:SCOPE_SYS
	v_and_b32_e32 v2, 1, v2
	s_branch .LBB1_362
.LBB1_367:                              ;   in Loop: Header=BB1_289 Depth=1
	global_load_b64 v[0:1], v[0:1], off
	s_and_saveexec_b32 s11, s0
	s_cbranch_execz .LBB1_288
; %bb.368:                              ;   in Loop: Header=BB1_289 Depth=1
	s_clause 0x2
	global_load_b64 v[2:3], v10, s[2:3] offset:40
	global_load_b64 v[17:18], v10, s[2:3] offset:24 scope:SCOPE_SYS
	global_load_b64 v[13:14], v10, s[2:3]
	s_wait_loadcnt 0x2
	v_readfirstlane_b32 s12, v2
	v_readfirstlane_b32 s13, v3
	s_add_nc_u64 s[0:1], s[12:13], 1
	s_wait_alu 0xfffe
	s_add_nc_u64 s[4:5], s[0:1], s[4:5]
	s_wait_alu 0xfffe
	s_cmp_eq_u64 s[4:5], 0
	s_cselect_b32 s1, s1, s5
	s_cselect_b32 s0, s0, s4
	s_wait_alu 0xfffe
	v_dual_mov_b32 v16, s1 :: v_dual_mov_b32 v15, s0
	s_and_b64 s[4:5], s[0:1], s[12:13]
	s_wait_alu 0xfffe
	s_mul_u64 s[4:5], s[4:5], 24
	s_wait_loadcnt 0x0
	s_wait_alu 0xfffe
	v_add_co_u32 v2, vcc_lo, v13, s4
	s_wait_alu 0xfffd
	v_add_co_ci_u32_e64 v3, null, s5, v14, vcc_lo
	global_store_b64 v[2:3], v[17:18], off
	global_wb scope:SCOPE_SYS
	s_wait_storecnt 0x0
	global_atomic_cmpswap_b64 v[15:16], v10, v[15:18], s[2:3] offset:24 th:TH_ATOMIC_RETURN scope:SCOPE_SYS
	s_wait_loadcnt 0x0
	v_cmp_ne_u64_e32 vcc_lo, v[15:16], v[17:18]
	s_and_b32 exec_lo, exec_lo, vcc_lo
	s_cbranch_execz .LBB1_288
; %bb.369:                              ;   in Loop: Header=BB1_289 Depth=1
	s_mov_b32 s4, 0
.LBB1_370:                              ;   Parent Loop BB1_289 Depth=1
                                        ; =>  This Inner Loop Header: Depth=2
	v_dual_mov_b32 v13, s0 :: v_dual_mov_b32 v14, s1
	s_sleep 1
	global_store_b64 v[2:3], v[15:16], off
	global_wb scope:SCOPE_SYS
	s_wait_storecnt 0x0
	global_atomic_cmpswap_b64 v[13:14], v10, v[13:16], s[2:3] offset:24 th:TH_ATOMIC_RETURN scope:SCOPE_SYS
	s_wait_loadcnt 0x0
	v_cmp_eq_u64_e32 vcc_lo, v[13:14], v[15:16]
	v_dual_mov_b32 v16, v14 :: v_dual_mov_b32 v15, v13
	s_wait_alu 0xfffe
	s_or_b32 s4, vcc_lo, s4
	s_wait_alu 0xfffe
	s_and_not1_b32 exec_lo, exec_lo, s4
	s_cbranch_execnz .LBB1_370
	s_branch .LBB1_288
.LBB1_371:
	s_or_b32 exec_lo, exec_lo, s7
                                        ; implicit-def: $vgpr39
                                        ; implicit-def: $vgpr50
.LBB1_372:
	s_wait_alu 0xfffe
	s_and_not1_saveexec_b32 s6, s6
	s_cbranch_execz .LBB1_400
; %bb.373:
	v_readfirstlane_b32 s0, v50
	v_mov_b32_e32 v3, 0
	v_mov_b32_e32 v4, 0
	s_wait_alu 0xf1ff
	s_delay_alu instid0(VALU_DEP_3)
	v_cmp_eq_u32_e64 s0, s0, v50
	s_and_saveexec_b32 s1, s0
	s_cbranch_execz .LBB1_379
; %bb.374:
	v_mov_b32_e32 v2, 0
	s_mov_b32 s4, exec_lo
	global_load_b64 v[5:6], v2, s[2:3] offset:24 scope:SCOPE_SYS
	s_wait_loadcnt 0x0
	global_inv scope:SCOPE_SYS
	s_clause 0x1
	global_load_b64 v[3:4], v2, s[2:3] offset:40
	global_load_b64 v[9:10], v2, s[2:3]
	s_wait_loadcnt 0x1
	v_and_b32_e32 v4, v4, v6
	v_and_b32_e32 v3, v3, v5
	s_delay_alu instid0(VALU_DEP_2) | instskip(NEXT) | instid1(VALU_DEP_2)
	v_mul_lo_u32 v4, 24, v4
	v_mul_lo_u32 v11, 0, v3
	v_mul_hi_u32 v12, 24, v3
	v_mul_lo_u32 v3, 24, v3
	s_delay_alu instid0(VALU_DEP_3) | instskip(SKIP_1) | instid1(VALU_DEP_2)
	v_add_nc_u32_e32 v4, v4, v11
	s_wait_loadcnt 0x0
	v_add_co_u32 v3, vcc_lo, v9, v3
	s_delay_alu instid0(VALU_DEP_2) | instskip(SKIP_1) | instid1(VALU_DEP_1)
	v_add_nc_u32_e32 v4, v4, v12
	s_wait_alu 0xfffd
	v_add_co_ci_u32_e64 v4, null, v10, v4, vcc_lo
	global_load_b64 v[3:4], v[3:4], off scope:SCOPE_SYS
	s_wait_loadcnt 0x0
	global_atomic_cmpswap_b64 v[3:4], v2, v[3:6], s[2:3] offset:24 th:TH_ATOMIC_RETURN scope:SCOPE_SYS
	s_wait_loadcnt 0x0
	global_inv scope:SCOPE_SYS
	v_cmpx_ne_u64_e64 v[3:4], v[5:6]
	s_cbranch_execz .LBB1_378
; %bb.375:
	s_mov_b32 s5, 0
.LBB1_376:                              ; =>This Inner Loop Header: Depth=1
	s_sleep 1
	s_clause 0x1
	global_load_b64 v[9:10], v2, s[2:3] offset:40
	global_load_b64 v[11:12], v2, s[2:3]
	v_dual_mov_b32 v6, v4 :: v_dual_mov_b32 v5, v3
	s_wait_loadcnt 0x1
	s_delay_alu instid0(VALU_DEP_1) | instskip(NEXT) | instid1(VALU_DEP_2)
	v_and_b32_e32 v3, v9, v5
	v_and_b32_e32 v9, v10, v6
	s_wait_loadcnt 0x0
	s_delay_alu instid0(VALU_DEP_2) | instskip(NEXT) | instid1(VALU_DEP_1)
	v_mad_co_u64_u32 v[3:4], null, v3, 24, v[11:12]
	v_mad_co_u64_u32 v[9:10], null, v9, 24, v[4:5]
	s_delay_alu instid0(VALU_DEP_1)
	v_mov_b32_e32 v4, v9
	global_load_b64 v[3:4], v[3:4], off scope:SCOPE_SYS
	s_wait_loadcnt 0x0
	global_atomic_cmpswap_b64 v[3:4], v2, v[3:6], s[2:3] offset:24 th:TH_ATOMIC_RETURN scope:SCOPE_SYS
	s_wait_loadcnt 0x0
	global_inv scope:SCOPE_SYS
	v_cmp_eq_u64_e32 vcc_lo, v[3:4], v[5:6]
	s_wait_alu 0xfffe
	s_or_b32 s5, vcc_lo, s5
	s_wait_alu 0xfffe
	s_and_not1_b32 exec_lo, exec_lo, s5
	s_cbranch_execnz .LBB1_376
; %bb.377:
	s_or_b32 exec_lo, exec_lo, s5
.LBB1_378:
	s_wait_alu 0xfffe
	s_or_b32 exec_lo, exec_lo, s4
.LBB1_379:
	s_wait_alu 0xfffe
	s_or_b32 exec_lo, exec_lo, s1
	v_readfirstlane_b32 s4, v3
	v_mov_b32_e32 v2, 0
	v_readfirstlane_b32 s5, v4
	s_mov_b32 s1, exec_lo
	s_clause 0x1
	global_load_b64 v[5:6], v2, s[2:3] offset:40
	global_load_b128 v[9:12], v2, s[2:3]
	s_wait_loadcnt 0x1
	s_wait_alu 0xf1ff
	v_and_b32_e32 v14, s5, v6
	v_and_b32_e32 v13, s4, v5
	s_delay_alu instid0(VALU_DEP_2) | instskip(NEXT) | instid1(VALU_DEP_2)
	v_mul_lo_u32 v3, 24, v14
	v_mul_lo_u32 v4, 0, v13
	v_mul_hi_u32 v5, 24, v13
	v_mul_lo_u32 v6, 24, v13
	s_delay_alu instid0(VALU_DEP_3) | instskip(SKIP_1) | instid1(VALU_DEP_2)
	v_add_nc_u32_e32 v3, v3, v4
	s_wait_loadcnt 0x0
	v_add_co_u32 v4, vcc_lo, v9, v6
	s_delay_alu instid0(VALU_DEP_2) | instskip(SKIP_1) | instid1(VALU_DEP_1)
	v_add_nc_u32_e32 v3, v3, v5
	s_wait_alu 0xfffd
	v_add_co_ci_u32_e64 v5, null, v10, v3, vcc_lo
	s_and_saveexec_b32 s7, s0
	s_cbranch_execz .LBB1_381
; %bb.380:
	s_wait_alu 0xfffe
	v_dual_mov_b32 v15, s1 :: v_dual_mov_b32 v16, v2
	v_dual_mov_b32 v17, 2 :: v_dual_mov_b32 v18, 1
	global_store_b128 v[4:5], v[15:18], off offset:8
.LBB1_381:
	s_wait_alu 0xfffe
	s_or_b32 exec_lo, exec_lo, s7
	v_lshlrev_b64_e32 v[13:14], 12, v[13:14]
	s_mov_b32 s12, 0
	v_and_or_b32 v0, 0xffffff1f, v0, 32
	s_wait_alu 0xfffe
	s_mov_b32 s15, s12
	s_mov_b32 s13, s12
	s_mov_b32 s14, s12
	v_add_co_u32 v6, vcc_lo, v11, v13
	s_wait_alu 0xfffd
	v_add_co_ci_u32_e64 v12, null, v12, v14, vcc_lo
	s_wait_alu 0xfffe
	v_dual_mov_b32 v3, v2 :: v_dual_mov_b32 v16, s15
	v_add_co_u32 v11, vcc_lo, v6, v39
	v_readfirstlane_b32 s10, v6
	v_readfirstlane_b32 s11, v12
	s_wait_alu 0xfffd
	v_add_co_ci_u32_e64 v12, null, 0, v12, vcc_lo
	v_dual_mov_b32 v15, s14 :: v_dual_mov_b32 v14, s13
	v_mov_b32_e32 v13, s12
	s_clause 0x3
	global_store_b128 v39, v[0:3], s[10:11]
	global_store_b128 v39, v[13:16], s[10:11] offset:16
	global_store_b128 v39, v[13:16], s[10:11] offset:32
	global_store_b128 v39, v[13:16], s[10:11] offset:48
	s_and_saveexec_b32 s1, s0
	s_cbranch_execz .LBB1_389
; %bb.382:
	v_mov_b32_e32 v6, 0
	s_mov_b32 s7, exec_lo
	s_clause 0x1
	global_load_b64 v[15:16], v6, s[2:3] offset:32 scope:SCOPE_SYS
	global_load_b64 v[0:1], v6, s[2:3] offset:40
	v_dual_mov_b32 v13, s4 :: v_dual_mov_b32 v14, s5
	s_wait_loadcnt 0x0
	v_and_b32_e32 v1, s5, v1
	v_and_b32_e32 v0, s4, v0
	s_delay_alu instid0(VALU_DEP_2) | instskip(NEXT) | instid1(VALU_DEP_2)
	v_mul_lo_u32 v1, 24, v1
	v_mul_lo_u32 v2, 0, v0
	v_mul_hi_u32 v3, 24, v0
	v_mul_lo_u32 v0, 24, v0
	s_delay_alu instid0(VALU_DEP_3) | instskip(NEXT) | instid1(VALU_DEP_2)
	v_add_nc_u32_e32 v1, v1, v2
	v_add_co_u32 v9, vcc_lo, v9, v0
	s_delay_alu instid0(VALU_DEP_2) | instskip(SKIP_1) | instid1(VALU_DEP_1)
	v_add_nc_u32_e32 v1, v1, v3
	s_wait_alu 0xfffd
	v_add_co_ci_u32_e64 v10, null, v10, v1, vcc_lo
	global_store_b64 v[9:10], v[15:16], off
	global_wb scope:SCOPE_SYS
	s_wait_storecnt 0x0
	global_atomic_cmpswap_b64 v[2:3], v6, v[13:16], s[2:3] offset:32 th:TH_ATOMIC_RETURN scope:SCOPE_SYS
	s_wait_loadcnt 0x0
	v_cmpx_ne_u64_e64 v[2:3], v[15:16]
	s_cbranch_execz .LBB1_385
; %bb.383:
	s_mov_b32 s10, 0
.LBB1_384:                              ; =>This Inner Loop Header: Depth=1
	v_dual_mov_b32 v0, s4 :: v_dual_mov_b32 v1, s5
	s_sleep 1
	global_store_b64 v[9:10], v[2:3], off
	global_wb scope:SCOPE_SYS
	s_wait_storecnt 0x0
	global_atomic_cmpswap_b64 v[0:1], v6, v[0:3], s[2:3] offset:32 th:TH_ATOMIC_RETURN scope:SCOPE_SYS
	s_wait_loadcnt 0x0
	v_cmp_eq_u64_e32 vcc_lo, v[0:1], v[2:3]
	v_dual_mov_b32 v3, v1 :: v_dual_mov_b32 v2, v0
	s_wait_alu 0xfffe
	s_or_b32 s10, vcc_lo, s10
	s_wait_alu 0xfffe
	s_and_not1_b32 exec_lo, exec_lo, s10
	s_cbranch_execnz .LBB1_384
.LBB1_385:
	s_wait_alu 0xfffe
	s_or_b32 exec_lo, exec_lo, s7
	v_mov_b32_e32 v3, 0
	s_mov_b32 s10, exec_lo
	s_mov_b32 s7, exec_lo
	s_wait_alu 0xfffe
	v_mbcnt_lo_u32_b32 v2, s10, 0
	global_load_b64 v[0:1], v3, s[2:3] offset:16
	v_cmpx_eq_u32_e32 0, v2
	s_cbranch_execz .LBB1_387
; %bb.386:
	s_bcnt1_i32_b32 s10, s10
	s_wait_alu 0xfffe
	v_mov_b32_e32 v2, s10
	global_wb scope:SCOPE_SYS
	s_wait_loadcnt 0x0
	s_wait_storecnt 0x0
	global_atomic_add_u64 v[0:1], v[2:3], off offset:8 scope:SCOPE_SYS
.LBB1_387:
	s_or_b32 exec_lo, exec_lo, s7
	s_wait_loadcnt 0x0
	global_load_b64 v[2:3], v[0:1], off offset:16
	s_wait_loadcnt 0x0
	v_cmp_eq_u64_e32 vcc_lo, 0, v[2:3]
	s_cbranch_vccnz .LBB1_389
; %bb.388:
	global_load_b32 v0, v[0:1], off offset:24
	v_mov_b32_e32 v1, 0
	s_wait_loadcnt 0x0
	v_readfirstlane_b32 s7, v0
	global_wb scope:SCOPE_SYS
	s_wait_storecnt 0x0
	global_store_b64 v[2:3], v[0:1], off scope:SCOPE_SYS
	s_and_b32 m0, s7, 0xffffff
	s_sendmsg sendmsg(MSG_INTERRUPT)
.LBB1_389:
	s_wait_alu 0xfffe
	s_or_b32 exec_lo, exec_lo, s1
	s_branch .LBB1_393
.LBB1_390:                              ;   in Loop: Header=BB1_393 Depth=1
	s_wait_alu 0xfffe
	s_or_b32 exec_lo, exec_lo, s1
	s_delay_alu instid0(VALU_DEP_1)
	v_readfirstlane_b32 s1, v0
	s_cmp_eq_u32 s1, 0
	s_cbranch_scc1 .LBB1_392
; %bb.391:                              ;   in Loop: Header=BB1_393 Depth=1
	s_sleep 1
	s_cbranch_execnz .LBB1_393
	s_branch .LBB1_395
.LBB1_392:
	s_branch .LBB1_395
.LBB1_393:                              ; =>This Inner Loop Header: Depth=1
	v_mov_b32_e32 v0, 1
	s_and_saveexec_b32 s1, s0
	s_cbranch_execz .LBB1_390
; %bb.394:                              ;   in Loop: Header=BB1_393 Depth=1
	global_load_b32 v0, v[4:5], off offset:20 scope:SCOPE_SYS
	s_wait_loadcnt 0x0
	global_inv scope:SCOPE_SYS
	v_and_b32_e32 v0, 1, v0
	s_branch .LBB1_390
.LBB1_395:
	global_load_b64 v[0:1], v[11:12], off
	s_and_saveexec_b32 s7, s0
	s_cbranch_execz .LBB1_399
; %bb.396:
	v_mov_b32_e32 v6, 0
	s_clause 0x2
	global_load_b64 v[2:3], v6, s[2:3] offset:40
	global_load_b64 v[13:14], v6, s[2:3] offset:24 scope:SCOPE_SYS
	global_load_b64 v[4:5], v6, s[2:3]
	s_wait_loadcnt 0x2
	v_readfirstlane_b32 s10, v2
	v_readfirstlane_b32 s11, v3
	s_add_nc_u64 s[0:1], s[10:11], 1
	s_wait_alu 0xfffe
	s_add_nc_u64 s[4:5], s[0:1], s[4:5]
	s_wait_alu 0xfffe
	s_cmp_eq_u64 s[4:5], 0
	s_cselect_b32 s1, s1, s5
	s_cselect_b32 s0, s0, s4
	s_wait_alu 0xfffe
	v_mov_b32_e32 v12, s1
	s_and_b64 s[4:5], s[0:1], s[10:11]
	v_mov_b32_e32 v11, s0
	s_wait_alu 0xfffe
	s_mul_u64 s[4:5], s[4:5], 24
	s_wait_loadcnt 0x0
	s_wait_alu 0xfffe
	v_add_co_u32 v9, vcc_lo, v4, s4
	s_wait_alu 0xfffd
	v_add_co_ci_u32_e64 v10, null, s5, v5, vcc_lo
	global_store_b64 v[9:10], v[13:14], off
	global_wb scope:SCOPE_SYS
	s_wait_storecnt 0x0
	global_atomic_cmpswap_b64 v[4:5], v6, v[11:14], s[2:3] offset:24 th:TH_ATOMIC_RETURN scope:SCOPE_SYS
	s_wait_loadcnt 0x0
	v_cmp_ne_u64_e32 vcc_lo, v[4:5], v[13:14]
	s_and_b32 exec_lo, exec_lo, vcc_lo
	s_cbranch_execz .LBB1_399
; %bb.397:
	s_mov_b32 s4, 0
.LBB1_398:                              ; =>This Inner Loop Header: Depth=1
	v_dual_mov_b32 v2, s0 :: v_dual_mov_b32 v3, s1
	s_sleep 1
	global_store_b64 v[9:10], v[4:5], off
	global_wb scope:SCOPE_SYS
	s_wait_storecnt 0x0
	global_atomic_cmpswap_b64 v[2:3], v6, v[2:5], s[2:3] offset:24 th:TH_ATOMIC_RETURN scope:SCOPE_SYS
	s_wait_loadcnt 0x0
	v_cmp_eq_u64_e32 vcc_lo, v[2:3], v[4:5]
	v_dual_mov_b32 v5, v3 :: v_dual_mov_b32 v4, v2
	s_wait_alu 0xfffe
	s_or_b32 s4, vcc_lo, s4
	s_wait_alu 0xfffe
	s_and_not1_b32 exec_lo, exec_lo, s4
	s_cbranch_execnz .LBB1_398
.LBB1_399:
	s_wait_alu 0xfffe
	s_or_b32 exec_lo, exec_lo, s7
.LBB1_400:
	s_wait_alu 0xfffe
	s_or_b32 exec_lo, exec_lo, s6
	v_dual_mov_b32 v2, v7 :: v_dual_mov_b32 v3, v8
	s_mov_b32 s0, 0
.LBB1_401:                              ; =>This Inner Loop Header: Depth=1
	global_load_u8 v6, v[2:3], off
	v_add_co_u32 v4, vcc_lo, v2, 1
	s_wait_alu 0xfffd
	v_add_co_ci_u32_e64 v5, null, 0, v3, vcc_lo
	s_delay_alu instid0(VALU_DEP_1)
	v_dual_mov_b32 v2, v4 :: v_dual_mov_b32 v3, v5
	s_wait_loadcnt 0x0
	v_cmp_eq_u16_e32 vcc_lo, 0, v6
	s_wait_alu 0xfffe
	s_or_b32 s0, vcc_lo, s0
	s_wait_alu 0xfffe
	s_and_not1_b32 exec_lo, exec_lo, s0
	s_cbranch_execnz .LBB1_401
; %bb.402:
	s_or_b32 exec_lo, exec_lo, s0
	v_sub_nc_u32_e32 v4, v4, v7
	v_dual_mov_b32 v2, v7 :: v_dual_mov_b32 v3, v8
	v_mov_b32_e32 v6, 1
	s_getpc_b64 s[0:1]
	s_wait_alu 0xfffe
	s_sext_i32_i16 s1, s1
	s_add_co_u32 s0, s0, __ockl_fprintf_append_string_n@rel32@lo+12
	s_wait_alu 0xfffe
	s_add_co_ci_u32 s1, s1, __ockl_fprintf_append_string_n@rel32@hi+24
	v_ashrrev_i32_e32 v5, 31, v4
	s_wait_alu 0xfffe
	s_swappc_b64 s[30:31], s[0:1]
	s_trap 2
.Lfunc_end1:
	.size	__assert_fail, .Lfunc_end1-__assert_fail
                                        ; -- End function
	.set .L__assert_fail.num_vgpr, max(54, .L__ockl_fprintf_append_string_n.num_vgpr)
	.set .L__assert_fail.num_agpr, max(0, .L__ockl_fprintf_append_string_n.num_agpr)
	.set .L__assert_fail.numbered_sgpr, max(34, .L__ockl_fprintf_append_string_n.numbered_sgpr)
	.set .L__assert_fail.num_named_barrier, max(0, .L__ockl_fprintf_append_string_n.num_named_barrier)
	.set .L__assert_fail.private_seg_size, 64+max(.L__ockl_fprintf_append_string_n.private_seg_size)
	.set .L__assert_fail.uses_vcc, or(1, .L__ockl_fprintf_append_string_n.uses_vcc)
	.set .L__assert_fail.uses_flat_scratch, or(1, .L__ockl_fprintf_append_string_n.uses_flat_scratch)
	.set .L__assert_fail.has_dyn_sized_stack, or(0, .L__ockl_fprintf_append_string_n.has_dyn_sized_stack)
	.set .L__assert_fail.has_recursion, or(0, .L__ockl_fprintf_append_string_n.has_recursion)
	.set .L__assert_fail.has_indirect_call, or(0, .L__ockl_fprintf_append_string_n.has_indirect_call)
	.section	.AMDGPU.csdata,"",@progbits
; Function info:
; codeLenInByte = 19256
; TotalNumSgprs: 36
; NumVgprs: 54
; ScratchSize: 64
; MemoryBound: 0
	.text
	.p2align	2                               ; -- Begin function _ZN3sop14minatoIsop5RecEjjiPNS_3SopEP7VecsMemIjLi8192EE
	.type	_ZN3sop14minatoIsop5RecEjjiPNS_3SopEP7VecsMemIjLi8192EE,@function
_ZN3sop14minatoIsop5RecEjjiPNS_3SopEP7VecsMemIjLi8192EE: ; @_ZN3sop14minatoIsop5RecEjjiPNS_3SopEP7VecsMemIjLi8192EE
; %bb.0:
	s_wait_loadcnt_dscnt 0x0
	s_wait_expcnt 0x0
	s_wait_samplecnt 0x0
	s_wait_bvhcnt 0x0
	s_wait_kmcnt 0x0
	s_mov_b32 s0, s33
	s_mov_b32 s33, s32
	s_or_saveexec_b32 s1, -1
	scratch_store_b32 off, v59, s33 offset:96 ; 4-byte Folded Spill
	s_wait_alu 0xfffe
	s_mov_b32 exec_lo, s1
	v_writelane_b32 v59, s0, 14
	s_addk_co_i32 s32, 0x70
	s_clause 0xa
	scratch_store_b32 off, v40, s33 offset:40
	; meta instruction
	scratch_store_b32 off, v41, s33 offset:36
	; meta instruction
	;; [unrolled: 2-line block ×10, first 2 shown]
	scratch_store_b32 off, v58, s33
	v_writelane_b32 v59, s34, 0
	v_writelane_b32 v59, s35, 1
	;; [unrolled: 1-line block ×14, first 2 shown]
	v_dual_mov_b32 v45, v6 :: v_dual_mov_b32 v44, v5
	v_dual_mov_b32 v42, v4 :: v_dual_mov_b32 v41, v3
	v_bfi_b32 v3, v1, 0, v0
	s_mov_b64 s[34:35], s[8:9]
	s_mov_b32 s17, 0
	s_mov_b32 s36, 0
	s_mov_b32 s0, exec_lo
	v_cmpx_ne_u32_e32 0, v3
	s_wait_alu 0xfffe
	s_xor_b32 s18, exec_lo, s0
                                        ; implicit-def: $vgpr65_vgpr66
	s_cbranch_execz .LBB2_2
; %bb.1:
	s_getpc_b64 s[0:1]
	s_wait_alu 0xfffe
	s_sext_i32_i16 s1, s1
	s_add_co_u32 s0, s0, .str.27@rel32@lo+12
	s_wait_alu 0xfffe
	s_add_co_ci_u32 s1, s1, .str.27@rel32@hi+24
	s_getpc_b64 s[2:3]
	s_wait_alu 0xfffe
	s_sext_i32_i16 s3, s3
	s_add_co_u32 s2, s2, .str.16@rel32@lo+12
	s_wait_alu 0xfffe
	s_add_co_ci_u32 s3, s3, .str.16@rel32@hi+24
	s_getpc_b64 s[4:5]
	s_wait_alu 0xfffe
	s_sext_i32_i16 s5, s5
	s_add_co_u32 s4, s4, __PRETTY_FUNCTION__._ZN3sop14minatoIsop5RecEjjiPNS_3SopEP7VecsMemIjLi8192EE@rel32@lo+12
	s_wait_alu 0xfffe
	s_add_co_ci_u32 s5, s5, __PRETTY_FUNCTION__._ZN3sop14minatoIsop5RecEjjiPNS_3SopEP7VecsMemIjLi8192EE@rel32@hi+24
	v_dual_mov_b32 v0, s0 :: v_dual_mov_b32 v1, s1
	v_dual_mov_b32 v2, s2 :: v_dual_mov_b32 v3, s3
	;; [unrolled: 1-line block ×3, first 2 shown]
	s_wait_alu 0xfffe
	v_mov_b32_e32 v6, s5
	s_getpc_b64 s[6:7]
	s_wait_alu 0xfffe
	s_sext_i32_i16 s7, s7
	s_add_co_u32 s6, s6, __assert_fail@rel32@lo+12
	s_wait_alu 0xfffe
	s_add_co_ci_u32 s7, s7, __assert_fail@rel32@hi+24
	s_mov_b64 s[8:9], s[34:35]
	s_wait_alu 0xfffe
	s_swappc_b64 s[30:31], s[6:7]
	s_mov_b32 s36, exec_lo
                                        ; implicit-def: $vgpr0
                                        ; implicit-def: $vgpr44
                                        ; implicit-def: $vgpr1
                                        ; implicit-def: $vgpr2
.LBB2_2:
	s_wait_alu 0xfffe
	s_or_saveexec_b32 s37, s18
	s_mov_b32 s0, 0
                                        ; implicit-def: $vgpr64
                                        ; implicit-def: $vgpr54
	s_wait_alu 0xfffe
	s_xor_b32 exec_lo, exec_lo, s37
	s_cbranch_execz .LBB2_7
; %bb.3:
	s_mov_b32 s1, -1
	s_mov_b32 s2, s36
	s_mov_b32 s38, exec_lo
                                        ; implicit-def: $vgpr64
                                        ; implicit-def: $vgpr54
	v_cmpx_ne_u32_e32 0, v0
	s_cbranch_execz .LBB2_406
; %bb.4:
	s_mov_b32 s0, -1
	s_mov_b32 s18, 0
	s_mov_b32 s17, s36
                                        ; implicit-def: $vgpr64
                                        ; implicit-def: $vgpr54
	s_mov_b32 s1, exec_lo
	v_cmpx_ne_u32_e32 -1, v1
	s_wait_alu 0xfffe
	s_xor_b32 s39, exec_lo, s1
	s_cbranch_execz .LBB2_266
; %bb.5:
	s_mov_b32 s17, 0
	s_mov_b32 s10, exec_lo
                                        ; implicit-def: $vgpr65
                                        ; implicit-def: $vgpr43
                                        ; implicit-def: $vgpr55
                                        ; implicit-def: $vgpr66
	v_cmpx_lt_i32_e32 0, v2
	s_cbranch_execz .LBB2_46
; %bb.6:
	v_lshrrev_b32_e32 v3, 8, v0
	v_lshrrev_b32_e32 v4, 4, v0
	;; [unrolled: 1-line block ×4, first 2 shown]
	v_and_b32_e32 v7, 0xffff, v0
	v_xor_b32_e32 v3, v3, v0
	v_xor_b32_e32 v4, v4, v0
	;; [unrolled: 1-line block ×4, first 2 shown]
	v_lshrrev_b32_e32 v66, 16, v0
	v_and_b32_e32 v3, 0xff00ff, v3
	v_and_b32_e32 v4, 0xf0f0f0f, v4
	;; [unrolled: 1-line block ×4, first 2 shown]
	v_cmp_eq_u32_e32 vcc_lo, v7, v66
	v_cmp_eq_u32_e64 s0, 0, v3
	v_cmp_eq_u32_e64 s1, 0, v4
	;; [unrolled: 1-line block ×4, first 2 shown]
	v_lshrrev_b32_e32 v3, 8, v1
	v_lshrrev_b32_e32 v4, 4, v1
	;; [unrolled: 1-line block ×4, first 2 shown]
	v_and_b32_e32 v7, 0xffff, v1
	v_xor_b32_e32 v3, v3, v1
	v_xor_b32_e32 v4, v4, v1
	;; [unrolled: 1-line block ×4, first 2 shown]
	v_lshrrev_b32_e32 v55, 16, v1
	v_and_b32_e32 v3, 0xff00ff, v3
	v_and_b32_e32 v4, 0xf0f0f0f, v4
	;; [unrolled: 1-line block ×4, first 2 shown]
	v_cmp_eq_u32_e64 s4, v7, v55
	v_cmp_eq_u32_e64 s5, 0, v3
	;; [unrolled: 1-line block ×5, first 2 shown]
	s_mov_b32 s12, 0
                                        ; implicit-def: $sgpr11
	s_branch .LBB2_11
.LBB2_7:
	s_or_b32 exec_lo, exec_lo, s37
	s_and_saveexec_b32 s1, s36
	s_wait_alu 0xfffe
	s_xor_b32 s1, exec_lo, s1
	s_cbranch_execz .LBB2_407
.LBB2_8:
	; divergent unreachable
	s_wait_alu 0xfffe
	s_or_b32 exec_lo, exec_lo, s1
	s_and_saveexec_b32 s1, s17
	s_cbranch_execnz .LBB2_408
	s_branch .LBB2_409
.LBB2_9:                                ;   in Loop: Header=BB2_11 Depth=1
	s_wait_alu 0xfffe
	s_or_b32 exec_lo, exec_lo, s16
	v_mov_b32_e32 v43, v2
	s_or_not1_b32 s15, s15, exec_lo
	s_or_not1_b32 s9, s9, exec_lo
.LBB2_10:                               ;   in Loop: Header=BB2_11 Depth=1
	s_wait_alu 0xfffe
	s_or_b32 exec_lo, exec_lo, s13
	s_xor_b32 s13, s15, -1
	s_and_b32 s9, exec_lo, s9
	s_wait_alu 0xfffe
	s_or_b32 s12, s9, s12
	s_and_not1_b32 s9, s11, exec_lo
	s_and_b32 s11, s13, exec_lo
	s_wait_alu 0xfffe
	s_or_b32 s11, s9, s11
	s_and_not1_b32 exec_lo, exec_lo, s12
	s_cbranch_execz .LBB2_209
.LBB2_11:                               ; =>This Inner Loop Header: Depth=1
	v_mov_b32_e32 v3, v2
	s_mov_b32 s14, 0
	s_mov_b32 s13, exec_lo
                                        ; implicit-def: $vgpr43
                                        ; implicit-def: $vgpr65
	s_delay_alu instid0(VALU_DEP_1)
	v_add_nc_u32_e32 v2, -1, v3
	v_cmpx_lt_i32_e32 3, v3
	s_wait_alu 0xfffe
	s_xor_b32 s13, exec_lo, s13
	s_cbranch_execz .LBB2_17
; %bb.12:                               ;   in Loop: Header=BB2_11 Depth=1
	v_cmp_lt_i32_e64 s9, 4, v3
	s_and_saveexec_b32 s15, s9
	s_wait_alu 0xfffe
	s_xor_b32 s9, exec_lo, s15
; %bb.13:                               ;   in Loop: Header=BB2_11 Depth=1
	s_and_b32 s14, vcc_lo, exec_lo
; %bb.14:                               ;   in Loop: Header=BB2_11 Depth=1
	s_wait_alu 0xfffe
	s_or_saveexec_b32 s9, s9
	v_mov_b32_e32 v65, 5
	v_mov_b32_e32 v43, 4
	s_wait_alu 0xfffe
	s_xor_b32 exec_lo, exec_lo, s9
; %bb.15:                               ;   in Loop: Header=BB2_11 Depth=1
	v_mov_b32_e32 v65, 4
	v_mov_b32_e32 v43, v2
	s_and_not1_b32 s14, s14, exec_lo
	s_and_b32 s15, s0, exec_lo
	s_wait_alu 0xfffe
	s_or_b32 s14, s14, s15
; %bb.16:                               ;   in Loop: Header=BB2_11 Depth=1
	s_or_b32 exec_lo, exec_lo, s9
	s_wait_alu 0xfffe
	s_and_b32 s14, s14, exec_lo
.LBB2_17:                               ;   in Loop: Header=BB2_11 Depth=1
	s_wait_alu 0xfffe
	s_and_not1_saveexec_b32 s13, s13
	s_cbranch_execz .LBB2_27
; %bb.18:                               ;   in Loop: Header=BB2_11 Depth=1
	v_cmp_lt_i32_e64 s9, 2, v3
	s_mov_b32 s15, s14
	s_and_saveexec_b32 s16, s9
	s_wait_alu 0xfffe
	s_xor_b32 s9, exec_lo, s16
; %bb.19:                               ;   in Loop: Header=BB2_11 Depth=1
	s_and_not1_b32 s15, s14, exec_lo
	s_and_b32 s16, s1, exec_lo
	s_wait_alu 0xfffe
	s_or_b32 s15, s15, s16
; %bb.20:                               ;   in Loop: Header=BB2_11 Depth=1
	s_or_saveexec_b32 s16, s9
	v_mov_b32_e32 v65, 3
	s_wait_alu 0xfffe
	s_xor_b32 exec_lo, exec_lo, s16
	s_cbranch_execz .LBB2_26
; %bb.21:                               ;   in Loop: Header=BB2_11 Depth=1
	v_cmp_ne_u32_e64 s9, 2, v3
	s_mov_b32 s17, s15
	s_and_saveexec_b32 s18, s9
	s_wait_alu 0xfffe
	s_xor_b32 s9, exec_lo, s18
; %bb.22:                               ;   in Loop: Header=BB2_11 Depth=1
	s_and_not1_b32 s17, s15, exec_lo
	s_and_b32 s18, s3, exec_lo
	s_wait_alu 0xfffe
	s_or_b32 s17, s17, s18
; %bb.23:                               ;   in Loop: Header=BB2_11 Depth=1
	s_or_saveexec_b32 s9, s9
	v_mov_b32_e32 v65, 1
	s_wait_alu 0xfffe
	s_xor_b32 exec_lo, exec_lo, s9
; %bb.24:                               ;   in Loop: Header=BB2_11 Depth=1
	v_mov_b32_e32 v65, 2
	s_and_not1_b32 s17, s17, exec_lo
	s_and_b32 s18, s2, exec_lo
	s_wait_alu 0xfffe
	s_or_b32 s17, s17, s18
; %bb.25:                               ;   in Loop: Header=BB2_11 Depth=1
	s_or_b32 exec_lo, exec_lo, s9
	s_delay_alu instid0(SALU_CYCLE_1)
	s_and_not1_b32 s9, s15, exec_lo
	s_wait_alu 0xfffe
	s_and_b32 s15, s17, exec_lo
	s_wait_alu 0xfffe
	s_or_b32 s15, s9, s15
.LBB2_26:                               ;   in Loop: Header=BB2_11 Depth=1
	s_or_b32 exec_lo, exec_lo, s16
	v_mov_b32_e32 v43, v2
	s_and_not1_b32 s9, s14, exec_lo
	s_wait_alu 0xfffe
	s_and_b32 s14, s15, exec_lo
	s_wait_alu 0xfffe
	s_or_b32 s14, s9, s14
.LBB2_27:                               ;   in Loop: Header=BB2_11 Depth=1
	s_wait_alu 0xfffe
	s_or_b32 exec_lo, exec_lo, s13
	s_mov_b32 s9, -1
	s_mov_b32 s15, -1
	s_and_saveexec_b32 s13, s14
	s_cbranch_execz .LBB2_10
; %bb.28:                               ;   in Loop: Header=BB2_11 Depth=1
	s_mov_b32 s14, 0
	s_mov_b32 s15, exec_lo
                                        ; implicit-def: $vgpr65
	v_cmpx_lt_i32_e32 3, v3
	s_wait_alu 0xfffe
	s_xor_b32 s15, exec_lo, s15
	s_cbranch_execz .LBB2_34
; %bb.29:                               ;   in Loop: Header=BB2_11 Depth=1
	v_cmp_lt_i32_e64 s9, 4, v3
	s_and_saveexec_b32 s16, s9
	s_wait_alu 0xfffe
	s_xor_b32 s9, exec_lo, s16
; %bb.30:                               ;   in Loop: Header=BB2_11 Depth=1
	s_and_b32 s14, s4, exec_lo
; %bb.31:                               ;   in Loop: Header=BB2_11 Depth=1
	s_wait_alu 0xfffe
	s_or_saveexec_b32 s9, s9
	v_mov_b32_e32 v65, 5
	s_wait_alu 0xfffe
	s_xor_b32 exec_lo, exec_lo, s9
; %bb.32:                               ;   in Loop: Header=BB2_11 Depth=1
	v_mov_b32_e32 v65, 4
	s_and_not1_b32 s14, s14, exec_lo
	s_and_b32 s16, s5, exec_lo
	s_wait_alu 0xfffe
	s_or_b32 s14, s14, s16
; %bb.33:                               ;   in Loop: Header=BB2_11 Depth=1
	s_or_b32 exec_lo, exec_lo, s9
	s_wait_alu 0xfffe
	s_and_b32 s14, s14, exec_lo
.LBB2_34:                               ;   in Loop: Header=BB2_11 Depth=1
	s_wait_alu 0xfffe
	s_and_not1_saveexec_b32 s15, s15
	s_cbranch_execz .LBB2_44
; %bb.35:                               ;   in Loop: Header=BB2_11 Depth=1
	v_cmp_lt_i32_e64 s9, 2, v3
	s_mov_b32 s16, s14
	s_and_saveexec_b32 s17, s9
	s_wait_alu 0xfffe
	s_xor_b32 s9, exec_lo, s17
; %bb.36:                               ;   in Loop: Header=BB2_11 Depth=1
	s_and_not1_b32 s16, s14, exec_lo
	s_and_b32 s17, s6, exec_lo
	s_wait_alu 0xfffe
	s_or_b32 s16, s16, s17
; %bb.37:                               ;   in Loop: Header=BB2_11 Depth=1
	s_or_saveexec_b32 s17, s9
	v_mov_b32_e32 v65, 3
	s_wait_alu 0xfffe
	s_xor_b32 exec_lo, exec_lo, s17
	s_cbranch_execz .LBB2_43
; %bb.38:                               ;   in Loop: Header=BB2_11 Depth=1
	v_cmp_ne_u32_e64 s9, 2, v3
	s_mov_b32 s18, s16
	s_and_saveexec_b32 s19, s9
	s_wait_alu 0xfffe
	s_xor_b32 s9, exec_lo, s19
; %bb.39:                               ;   in Loop: Header=BB2_11 Depth=1
	s_and_not1_b32 s18, s16, exec_lo
	s_and_b32 s19, s8, exec_lo
	s_wait_alu 0xfffe
	s_or_b32 s18, s18, s19
; %bb.40:                               ;   in Loop: Header=BB2_11 Depth=1
	s_or_saveexec_b32 s9, s9
	v_mov_b32_e32 v65, 1
	s_wait_alu 0xfffe
	s_xor_b32 exec_lo, exec_lo, s9
; %bb.41:                               ;   in Loop: Header=BB2_11 Depth=1
	v_mov_b32_e32 v65, 2
	s_and_not1_b32 s18, s18, exec_lo
	s_and_b32 s19, s7, exec_lo
	s_wait_alu 0xfffe
	s_or_b32 s18, s18, s19
; %bb.42:                               ;   in Loop: Header=BB2_11 Depth=1
	s_or_b32 exec_lo, exec_lo, s9
	s_delay_alu instid0(SALU_CYCLE_1)
	s_and_not1_b32 s9, s16, exec_lo
	s_wait_alu 0xfffe
	s_and_b32 s16, s18, exec_lo
	s_wait_alu 0xfffe
	s_or_b32 s16, s9, s16
.LBB2_43:                               ;   in Loop: Header=BB2_11 Depth=1
	s_or_b32 exec_lo, exec_lo, s17
	s_delay_alu instid0(SALU_CYCLE_1)
	s_and_not1_b32 s9, s14, exec_lo
	s_wait_alu 0xfffe
	s_and_b32 s14, s16, exec_lo
	s_wait_alu 0xfffe
	s_or_b32 s14, s9, s14
.LBB2_44:                               ;   in Loop: Header=BB2_11 Depth=1
	s_wait_alu 0xfffe
	s_or_b32 exec_lo, exec_lo, s15
	s_mov_b32 s9, -1
	s_mov_b32 s15, -1
	s_and_saveexec_b32 s16, s14
	s_cbranch_execz .LBB2_9
; %bb.45:                               ;   in Loop: Header=BB2_11 Depth=1
	v_cmp_gt_u32_e64 s9, 2, v3
	s_xor_b32 s15, exec_lo, -1
	s_wait_alu 0xfffe
	s_or_not1_b32 s9, s9, exec_lo
	s_branch .LBB2_9
.LBB2_46:
	s_wait_alu 0xfffe
	s_or_b32 exec_lo, exec_lo, s10
	s_mov_b32 s48, s36
	s_and_saveexec_b32 s18, s0
	s_cbranch_execz .LBB2_48
.LBB2_47:
	s_getpc_b64 s[0:1]
	s_wait_alu 0xfffe
	s_sext_i32_i16 s1, s1
	s_add_co_u32 s0, s0, .str.21@rel32@lo+12
	s_wait_alu 0xfffe
	s_add_co_ci_u32 s1, s1, .str.21@rel32@hi+24
	s_getpc_b64 s[2:3]
	s_wait_alu 0xfffe
	s_sext_i32_i16 s3, s3
	s_add_co_u32 s2, s2, .str.16@rel32@lo+12
	s_wait_alu 0xfffe
	s_add_co_ci_u32 s3, s3, .str.16@rel32@hi+24
	s_getpc_b64 s[4:5]
	s_wait_alu 0xfffe
	s_sext_i32_i16 s5, s5
	s_add_co_u32 s4, s4, __PRETTY_FUNCTION__._ZN3sop14minatoIsop5RecEjjiPNS_3SopEP7VecsMemIjLi8192EE@rel32@lo+12
	s_wait_alu 0xfffe
	s_add_co_ci_u32 s5, s5, __PRETTY_FUNCTION__._ZN3sop14minatoIsop5RecEjjiPNS_3SopEP7VecsMemIjLi8192EE@rel32@hi+24
	v_mov_b32_e32 v54, v0
	v_dual_mov_b32 v0, s0 :: v_dual_mov_b32 v3, s3
	v_dual_mov_b32 v64, v1 :: v_dual_mov_b32 v5, s4
	;; [unrolled: 1-line block ×3, first 2 shown]
	v_mov_b32_e32 v4, 41
	s_wait_alu 0xfffe
	v_mov_b32_e32 v6, s5
	s_getpc_b64 s[6:7]
	s_wait_alu 0xfffe
	s_sext_i32_i16 s7, s7
	s_add_co_u32 s6, s6, __assert_fail@rel32@lo+12
	s_wait_alu 0xfffe
	s_add_co_ci_u32 s7, s7, __assert_fail@rel32@hi+24
	s_mov_b64 s[8:9], s[34:35]
	s_wait_alu 0xfffc
	s_swappc_b64 s[30:31], s[6:7]
	v_dual_mov_b32 v1, v64 :: v_dual_mov_b32 v0, v54
	s_or_b32 s48, s36, exec_lo
	s_and_not1_b32 s17, s17, exec_lo
.LBB2_48:
	s_wait_alu 0xfffe
	s_or_b32 exec_lo, exec_lo, s18
	s_mov_b32 s0, 0
                                        ; implicit-def: $vgpr64
                                        ; implicit-def: $vgpr54
	s_and_saveexec_b32 s49, s17
	s_cbranch_execz .LBB2_265
; %bb.49:
	s_mov_b32 s0, exec_lo
                                        ; implicit-def: $vgpr3
                                        ; implicit-def: $vgpr2
	v_cmpx_lt_i32_e32 3, v65
	s_wait_alu 0xfffe
	s_xor_b32 s0, exec_lo, s0
	s_cbranch_execz .LBB2_53
; %bb.50:
	v_mov_b32_e32 v2, 0xffff
	v_mov_b32_e32 v3, 0x10001
	s_mov_b32 s1, exec_lo
	v_cmpx_gt_i32_e32 5, v65
; %bb.51:
	v_mov_b32_e32 v2, 0xff00ff
	v_mov_b32_e32 v3, 0x101
; %bb.52:
	s_wait_alu 0xfffe
	s_or_b32 exec_lo, exec_lo, s1
.LBB2_53:
	s_wait_alu 0xfffe
	s_and_not1_saveexec_b32 s0, s0
	s_cbranch_execz .LBB2_59
; %bb.54:
	s_mov_b32 s1, exec_lo
	v_cmpx_lt_i32_e32 2, v65
	s_wait_alu 0xfffe
	s_xor_b32 s1, exec_lo, s1
	s_wait_alu 0xfffe
	s_or_saveexec_b32 s1, s1
	v_dual_mov_b32 v2, 0xf0f0f0f :: v_dual_mov_b32 v3, 17
	s_wait_alu 0xfffe
	s_xor_b32 exec_lo, exec_lo, s1
	s_cbranch_execz .LBB2_58
; %bb.55:
	s_mov_b32 s2, exec_lo
	v_cmpx_ne_u32_e32 2, v65
	s_wait_alu 0xfffe
	s_xor_b32 s2, exec_lo, s2
	s_wait_alu 0xfffe
	s_or_saveexec_b32 s2, s2
	v_dual_mov_b32 v2, 0x55555555 :: v_dual_mov_b32 v3, 3
	s_wait_alu 0xfffe
	s_xor_b32 exec_lo, exec_lo, s2
; %bb.56:
	v_dual_mov_b32 v2, 0x33333333 :: v_dual_mov_b32 v3, 5
; %bb.57:
	s_or_b32 exec_lo, exec_lo, s2
.LBB2_58:
	s_delay_alu instid0(SALU_CYCLE_1)
	s_or_b32 exec_lo, exec_lo, s1
.LBB2_59:
	s_wait_alu 0xfffe
	s_or_b32 exec_lo, exec_lo, s0
	s_delay_alu instid0(SALU_CYCLE_1)
	s_mov_b32 s0, exec_lo
                                        ; implicit-def: $vgpr57
	v_cmpx_lt_i32_e32 3, v65
	s_wait_alu 0xfffe
	s_xor_b32 s0, exec_lo, s0
	s_cbranch_execz .LBB2_65
; %bb.60:
	s_mov_b32 s1, exec_lo
                                        ; implicit-def: $vgpr57
	v_cmpx_lt_i32_e32 4, v65
	s_wait_alu 0xfffe
	s_xor_b32 s1, exec_lo, s1
; %bb.61:
	v_and_or_b32 v57, 0xffff0000, v0, v66
; %bb.62:
	s_wait_alu 0xfffe
	s_and_not1_saveexec_b32 s1, s1
; %bb.63:
	v_and_b32_e32 v4, 0xff00ff00, v0
	s_delay_alu instid0(VALU_DEP_1) | instskip(NEXT) | instid1(VALU_DEP_1)
	v_lshrrev_b32_e32 v5, 8, v4
	v_or_b32_e32 v57, v5, v4
; %bb.64:
	s_wait_alu 0xfffe
	s_or_b32 exec_lo, exec_lo, s1
.LBB2_65:
	s_wait_alu 0xfffe
	s_and_not1_saveexec_b32 s0, s0
	s_cbranch_execz .LBB2_75
; %bb.66:
	s_mov_b32 s1, exec_lo
                                        ; implicit-def: $vgpr57
	v_cmpx_lt_i32_e32 2, v65
	s_wait_alu 0xfffe
	s_xor_b32 s1, exec_lo, s1
; %bb.67:
	v_and_b32_e32 v4, 0xf0f0f0f0, v0
	s_delay_alu instid0(VALU_DEP_1) | instskip(NEXT) | instid1(VALU_DEP_1)
	v_lshrrev_b32_e32 v5, 4, v4
	v_or_b32_e32 v57, v5, v4
; %bb.68:
	s_wait_alu 0xfffe
	s_and_not1_saveexec_b32 s1, s1
	s_cbranch_execz .LBB2_74
; %bb.69:
	s_mov_b32 s2, exec_lo
                                        ; implicit-def: $vgpr57
	v_cmpx_ne_u32_e32 2, v65
	s_wait_alu 0xfffe
	s_xor_b32 s2, exec_lo, s2
; %bb.70:
	v_and_b32_e32 v4, 0xaaaaaaaa, v0
	s_delay_alu instid0(VALU_DEP_1) | instskip(NEXT) | instid1(VALU_DEP_1)
	v_lshrrev_b32_e32 v5, 1, v4
	v_or_b32_e32 v57, v5, v4
; %bb.71:
	s_wait_alu 0xfffe
	s_and_not1_saveexec_b32 s2, s2
; %bb.72:
	v_and_b32_e32 v4, 0xcccccccc, v0
	s_delay_alu instid0(VALU_DEP_1) | instskip(NEXT) | instid1(VALU_DEP_1)
	v_lshrrev_b32_e32 v5, 2, v4
	v_or_b32_e32 v57, v5, v4
; %bb.73:
	s_wait_alu 0xfffe
	s_or_b32 exec_lo, exec_lo, s2
.LBB2_74:
	s_wait_alu 0xfffe
	s_or_b32 exec_lo, exec_lo, s1
.LBB2_75:
	s_wait_alu 0xfffe
	s_or_b32 exec_lo, exec_lo, s0
	s_delay_alu instid0(SALU_CYCLE_1)
	s_mov_b32 s0, exec_lo
                                        ; implicit-def: $vgpr5
                                        ; implicit-def: $vgpr4
	v_cmpx_lt_i32_e32 3, v65
	s_wait_alu 0xfffe
	s_xor_b32 s0, exec_lo, s0
	s_cbranch_execz .LBB2_79
; %bb.76:
	v_mov_b32_e32 v4, 0xffff
	v_mov_b32_e32 v5, 0x10001
	s_mov_b32 s1, exec_lo
	v_cmpx_gt_i32_e32 5, v65
; %bb.77:
	v_mov_b32_e32 v4, 0xff00ff
	v_mov_b32_e32 v5, 0x101
; %bb.78:
	s_wait_alu 0xfffe
	s_or_b32 exec_lo, exec_lo, s1
.LBB2_79:
	s_wait_alu 0xfffe
	s_and_not1_saveexec_b32 s0, s0
	s_cbranch_execz .LBB2_85
; %bb.80:
	s_mov_b32 s1, exec_lo
	v_cmpx_lt_i32_e32 2, v65
	s_wait_alu 0xfffe
	s_xor_b32 s1, exec_lo, s1
	s_wait_alu 0xfffe
	s_or_saveexec_b32 s1, s1
	v_dual_mov_b32 v4, 0xf0f0f0f :: v_dual_mov_b32 v5, 17
	s_wait_alu 0xfffe
	s_xor_b32 exec_lo, exec_lo, s1
	s_cbranch_execz .LBB2_84
; %bb.81:
	s_mov_b32 s2, exec_lo
	v_cmpx_ne_u32_e32 2, v65
	s_wait_alu 0xfffe
	s_xor_b32 s2, exec_lo, s2
	s_wait_alu 0xfffe
	s_or_saveexec_b32 s2, s2
	v_dual_mov_b32 v4, 0x55555555 :: v_dual_mov_b32 v5, 3
	s_wait_alu 0xfffe
	s_xor_b32 exec_lo, exec_lo, s2
; %bb.82:
	v_dual_mov_b32 v4, 0x33333333 :: v_dual_mov_b32 v5, 5
; %bb.83:
	s_or_b32 exec_lo, exec_lo, s2
.LBB2_84:
	s_delay_alu instid0(SALU_CYCLE_1)
	s_or_b32 exec_lo, exec_lo, s1
.LBB2_85:
	s_wait_alu 0xfffe
	s_or_b32 exec_lo, exec_lo, s0
	s_delay_alu instid0(SALU_CYCLE_1)
	s_mov_b32 s0, exec_lo
                                        ; implicit-def: $vgpr40
	v_cmpx_lt_i32_e32 3, v65
	s_wait_alu 0xfffe
	s_xor_b32 s0, exec_lo, s0
	s_cbranch_execz .LBB2_91
; %bb.86:
	s_mov_b32 s1, exec_lo
                                        ; implicit-def: $vgpr40
	v_cmpx_lt_i32_e32 4, v65
	s_wait_alu 0xfffe
	s_xor_b32 s1, exec_lo, s1
; %bb.87:
	v_and_or_b32 v40, 0xffff0000, v1, v55
; %bb.88:
	s_wait_alu 0xfffe
	s_and_not1_saveexec_b32 s1, s1
; %bb.89:
	v_and_b32_e32 v6, 0xff00ff00, v1
	s_delay_alu instid0(VALU_DEP_1) | instskip(NEXT) | instid1(VALU_DEP_1)
	v_lshrrev_b32_e32 v7, 8, v6
	v_or_b32_e32 v40, v7, v6
; %bb.90:
	s_wait_alu 0xfffe
	s_or_b32 exec_lo, exec_lo, s1
                                        ; implicit-def: $vgpr65
.LBB2_91:
	s_wait_alu 0xfffe
	s_and_not1_saveexec_b32 s0, s0
	s_cbranch_execz .LBB2_101
; %bb.92:
	s_mov_b32 s1, exec_lo
                                        ; implicit-def: $vgpr40
	v_cmpx_lt_i32_e32 2, v65
	s_wait_alu 0xfffe
	s_xor_b32 s1, exec_lo, s1
; %bb.93:
	v_and_b32_e32 v6, 0xf0f0f0f0, v1
                                        ; implicit-def: $vgpr65
	s_delay_alu instid0(VALU_DEP_1) | instskip(NEXT) | instid1(VALU_DEP_1)
	v_lshrrev_b32_e32 v7, 4, v6
	v_or_b32_e32 v40, v7, v6
; %bb.94:
	s_wait_alu 0xfffe
	s_and_not1_saveexec_b32 s1, s1
	s_cbranch_execz .LBB2_100
; %bb.95:
	s_mov_b32 s2, exec_lo
                                        ; implicit-def: $vgpr40
	v_cmpx_ne_u32_e32 2, v65
	s_wait_alu 0xfffe
	s_xor_b32 s2, exec_lo, s2
; %bb.96:
	v_and_b32_e32 v6, 0xaaaaaaaa, v1
	s_delay_alu instid0(VALU_DEP_1) | instskip(NEXT) | instid1(VALU_DEP_1)
	v_lshrrev_b32_e32 v7, 1, v6
	v_or_b32_e32 v40, v7, v6
; %bb.97:
	s_wait_alu 0xfffe
	s_and_not1_saveexec_b32 s2, s2
; %bb.98:
	v_and_b32_e32 v6, 0xcccccccc, v1
	s_delay_alu instid0(VALU_DEP_1) | instskip(NEXT) | instid1(VALU_DEP_1)
	v_lshrrev_b32_e32 v7, 2, v6
	v_or_b32_e32 v40, v7, v6
; %bb.99:
	s_wait_alu 0xfffe
	s_or_b32 exec_lo, exec_lo, s2
.LBB2_100:
	s_wait_alu 0xfffe
	s_or_b32 exec_lo, exec_lo, s1
.LBB2_101:
	s_wait_alu 0xfffe
	s_or_b32 exec_lo, exec_lo, s0
	s_getpc_b64 s[52:53]
	s_wait_alu 0xfffe
	s_sext_i32_i16 s53, s53
	s_add_co_u32 s52, s52, _ZN3sop14minatoIsop5RecEjjiPNS_3SopEP7VecsMemIjLi8192EE@rel32@lo+12
	s_wait_alu 0xfffe
	s_add_co_ci_u32 s53, s53, _ZN3sop14minatoIsop5RecEjjiPNS_3SopEP7VecsMemIjLi8192EE@rel32@hi+24
	v_and_b32_e32 v1, v4, v1
	s_add_co_i32 s0, s33, 48
	v_and_b32_e32 v0, v2, v0
	v_mov_b32_e32 v2, v43
	s_mov_b64 s[50:51], src_private_base
	v_mul_lo_u32 v56, v1, v5
	s_wait_alu 0xfffe
	v_dual_mov_b32 v5, v44 :: v_dual_mov_b32 v4, s51
	v_mul_lo_u32 v58, v0, v3
	v_mov_b32_e32 v3, s0
	s_mov_b64 s[8:9], s[34:35]
	s_delay_alu instid0(VALU_DEP_4) | instskip(NEXT) | instid1(VALU_DEP_3)
	v_dual_mov_b32 v6, v45 :: v_dual_mov_b32 v1, v56
	v_bfi_b32 v0, v40, 0, v58
	s_wait_alu 0xfffc
	s_swappc_b64 s[30:31], s[52:53]
	s_add_co_i32 s0, s33, 64
	s_delay_alu instid0(VALU_DEP_1)
	v_dual_mov_b32 v46, v0 :: v_dual_mov_b32 v1, v40
	v_bfi_b32 v0, v56, 0, v57
	s_wait_alu 0xfffe
	v_dual_mov_b32 v2, v43 :: v_dual_mov_b32 v3, s0
	v_dual_mov_b32 v4, s51 :: v_dual_mov_b32 v5, v44
	v_mov_b32_e32 v6, v45
	s_mov_b64 s[8:9], s[34:35]
	s_wait_alu 0xfffe
	s_swappc_b64 s[30:31], s[52:53]
	v_mov_b32_e32 v47, v0
	v_bfi_b32 v0, v46, 0, v58
	s_add_co_i32 s0, s33, 0x50
	v_dual_mov_b32 v4, s51 :: v_dual_and_b32 v1, v56, v40
	s_delay_alu instid0(VALU_DEP_3)
	v_not_b32_e32 v2, v47
	s_wait_alu 0xfffe
	v_dual_mov_b32 v3, s0 :: v_dual_mov_b32 v6, v45
	v_mov_b32_e32 v5, v44
	s_mov_b64 s[8:9], s[34:35]
	v_and_or_b32 v0, v57, v2, v0
	v_mov_b32_e32 v2, v43
	s_wait_alu 0xfffe
	s_swappc_b64 s[30:31], s[52:53]
	s_clause 0x2
	scratch_load_b64 v[67:68], off, s33 offset:48
	scratch_load_b64 v[64:65], off, s33 offset:64
	;; [unrolled: 1-line block ×3, first 2 shown]
	s_mov_b32 s17, 0
	s_mov_b32 s0, -1
	s_mov_b32 s20, s48
	s_mov_b32 s18, exec_lo
	s_wait_loadcnt 0x1
	v_add_nc_u32_e32 v1, v65, v68
	s_delay_alu instid0(VALU_DEP_1) | instskip(SKIP_2) | instid1(VALU_DEP_2)
	v_dual_mov_b32 v66, 0 :: v_dual_add_nc_u32 v3, v1, v67
	s_wait_loadcnt 0x0
	v_dual_mov_b32 v67, 0 :: v_dual_add_nc_u32 v2, v1, v55
	v_add3_u32 v1, v3, v64, v54
	flat_store_b64 v[41:42], v[1:2]
	v_cmpx_lt_i32_e32 0, v2
	s_cbranch_execz .LBB2_242
; %bb.102:
	flat_load_b32 v1, v[44:45]
	s_mov_b32 s19, 0
	s_mov_b32 s0, exec_lo
	v_mov_b32_e32 v66, 0
	v_mov_b32_e32 v67, 0
	s_wait_loadcnt_dscnt 0x0
	v_add_nc_u32_e32 v3, v1, v2
	s_delay_alu instid0(VALU_DEP_1)
	v_cmpx_gt_i32_e32 0x2001, v3
	s_wait_alu 0xfffe
	s_xor_b32 s0, exec_lo, s0
	s_cbranch_execz .LBB2_104
; %bb.103:
	v_ashrrev_i32_e32 v4, 31, v3
	v_dual_mov_b32 v6, 0 :: v_dual_mov_b32 v5, v2
	s_mov_b32 s19, exec_lo
	flat_store_b32 v[44:45], v3
	v_lshlrev_b64_e32 v[1:2], 2, v[3:4]
	v_lshlrev_b64_e32 v[4:5], 2, v[5:6]
	s_delay_alu instid0(VALU_DEP_2) | instskip(SKIP_1) | instid1(VALU_DEP_3)
	v_add_co_u32 v1, vcc_lo, v44, v1
	s_wait_alu 0xfffd
	v_add_co_ci_u32_e64 v2, null, v45, v2, vcc_lo
	s_delay_alu instid0(VALU_DEP_2) | instskip(SKIP_1) | instid1(VALU_DEP_2)
	v_sub_co_u32 v1, vcc_lo, v1, v4
	s_wait_alu 0xfffd
	v_sub_co_ci_u32_e64 v2, null, v2, v5, vcc_lo
	s_delay_alu instid0(VALU_DEP_2) | instskip(SKIP_1) | instid1(VALU_DEP_2)
	v_add_co_u32 v66, vcc_lo, v1, 4
	s_wait_alu 0xfffd
	v_add_co_ci_u32_e64 v67, null, 0, v2, vcc_lo
.LBB2_104:
	s_wait_alu 0xfffe
	s_or_saveexec_b32 s20, s0
	s_mov_b32 s0, s48
	s_wait_alu 0xfffe
	s_xor_b32 exec_lo, exec_lo, s20
	s_cbranch_execz .LBB2_241
; %bb.105:
	s_load_b64 s[2:3], s[34:35], 0x50
	v_mbcnt_lo_u32_b32 v32, -1, 0
	v_mov_b32_e32 v7, 0
	v_mov_b32_e32 v8, 0
	s_delay_alu instid0(VALU_DEP_3) | instskip(SKIP_1) | instid1(VALU_DEP_1)
	v_readfirstlane_b32 s0, v32
	s_wait_alu 0xf1ff
	v_cmp_eq_u32_e64 s0, s0, v32
	s_and_saveexec_b32 s1, s0
	s_cbranch_execz .LBB2_111
; %bb.106:
	v_mov_b32_e32 v1, 0
	s_mov_b32 s4, exec_lo
	s_wait_kmcnt 0x0
	global_load_b64 v[4:5], v1, s[2:3] offset:24 scope:SCOPE_SYS
	s_wait_loadcnt 0x0
	global_inv scope:SCOPE_SYS
	s_clause 0x1
	global_load_b64 v[2:3], v1, s[2:3] offset:40
	global_load_b64 v[6:7], v1, s[2:3]
	s_wait_loadcnt 0x1
	v_and_b32_e32 v3, v3, v5
	v_and_b32_e32 v2, v2, v4
	s_delay_alu instid0(VALU_DEP_2) | instskip(NEXT) | instid1(VALU_DEP_2)
	v_mul_lo_u32 v3, 24, v3
	v_mul_lo_u32 v8, 0, v2
	v_mul_hi_u32 v9, 24, v2
	v_mul_lo_u32 v2, 24, v2
	s_delay_alu instid0(VALU_DEP_3) | instskip(SKIP_1) | instid1(VALU_DEP_2)
	v_add_nc_u32_e32 v3, v3, v8
	s_wait_loadcnt 0x0
	v_add_co_u32 v2, vcc_lo, v6, v2
	s_delay_alu instid0(VALU_DEP_2) | instskip(SKIP_1) | instid1(VALU_DEP_1)
	v_add_nc_u32_e32 v3, v3, v9
	s_wait_alu 0xfffd
	v_add_co_ci_u32_e64 v3, null, v7, v3, vcc_lo
	global_load_b64 v[2:3], v[2:3], off scope:SCOPE_SYS
	s_wait_loadcnt 0x0
	global_atomic_cmpswap_b64 v[7:8], v1, v[2:5], s[2:3] offset:24 th:TH_ATOMIC_RETURN scope:SCOPE_SYS
	s_wait_loadcnt 0x0
	global_inv scope:SCOPE_SYS
	v_cmpx_ne_u64_e64 v[7:8], v[4:5]
	s_cbranch_execz .LBB2_110
; %bb.107:
	s_mov_b32 s5, 0
.LBB2_108:                              ; =>This Inner Loop Header: Depth=1
	s_sleep 1
	s_clause 0x1
	global_load_b64 v[2:3], v1, s[2:3] offset:40
	global_load_b64 v[9:10], v1, s[2:3]
	v_dual_mov_b32 v4, v7 :: v_dual_mov_b32 v5, v8
	s_wait_loadcnt 0x1
	s_delay_alu instid0(VALU_DEP_1) | instskip(NEXT) | instid1(VALU_DEP_2)
	v_and_b32_e32 v2, v2, v4
	v_and_b32_e32 v3, v3, v5
	s_wait_loadcnt 0x0
	s_delay_alu instid0(VALU_DEP_2) | instskip(NEXT) | instid1(VALU_DEP_1)
	v_mad_co_u64_u32 v[6:7], null, v2, 24, v[9:10]
	v_mov_b32_e32 v2, v7
	s_delay_alu instid0(VALU_DEP_1) | instskip(NEXT) | instid1(VALU_DEP_1)
	v_mad_co_u64_u32 v[2:3], null, v3, 24, v[2:3]
	v_mov_b32_e32 v7, v2
	global_load_b64 v[2:3], v[6:7], off scope:SCOPE_SYS
	s_wait_loadcnt 0x0
	global_atomic_cmpswap_b64 v[7:8], v1, v[2:5], s[2:3] offset:24 th:TH_ATOMIC_RETURN scope:SCOPE_SYS
	s_wait_loadcnt 0x0
	global_inv scope:SCOPE_SYS
	v_cmp_eq_u64_e32 vcc_lo, v[7:8], v[4:5]
	s_wait_alu 0xfffe
	s_or_b32 s5, vcc_lo, s5
	s_wait_alu 0xfffe
	s_and_not1_b32 exec_lo, exec_lo, s5
	s_cbranch_execnz .LBB2_108
; %bb.109:
	s_or_b32 exec_lo, exec_lo, s5
.LBB2_110:
	s_wait_alu 0xfffe
	s_or_b32 exec_lo, exec_lo, s4
.LBB2_111:
	s_wait_alu 0xfffe
	s_or_b32 exec_lo, exec_lo, s1
	v_readfirstlane_b32 s4, v7
	v_mov_b32_e32 v6, 0
	v_readfirstlane_b32 s5, v8
	s_mov_b32 s1, exec_lo
	s_wait_kmcnt 0x0
	s_clause 0x1
	global_load_b64 v[9:10], v6, s[2:3] offset:40
	global_load_b128 v[1:4], v6, s[2:3]
	s_wait_loadcnt 0x1
	s_wait_alu 0xf1ff
	v_and_b32_e32 v12, s5, v10
	v_and_b32_e32 v11, s4, v9
	s_delay_alu instid0(VALU_DEP_2) | instskip(NEXT) | instid1(VALU_DEP_2)
	v_mul_lo_u32 v5, 24, v12
	v_mul_lo_u32 v7, 0, v11
	v_mul_hi_u32 v8, 24, v11
	v_mul_lo_u32 v9, 24, v11
	s_delay_alu instid0(VALU_DEP_3) | instskip(SKIP_1) | instid1(VALU_DEP_2)
	v_add_nc_u32_e32 v5, v5, v7
	s_wait_loadcnt 0x0
	v_add_co_u32 v9, vcc_lo, v1, v9
	s_delay_alu instid0(VALU_DEP_2) | instskip(SKIP_1) | instid1(VALU_DEP_1)
	v_add_nc_u32_e32 v5, v5, v8
	s_wait_alu 0xfffd
	v_add_co_ci_u32_e64 v10, null, v2, v5, vcc_lo
	s_and_saveexec_b32 s6, s0
	s_cbranch_execz .LBB2_113
; %bb.112:
	s_wait_alu 0xfffe
	v_dual_mov_b32 v5, s1 :: v_dual_mov_b32 v8, 1
	v_mov_b32_e32 v7, 2
	global_store_b128 v[9:10], v[5:8], off offset:8
.LBB2_113:
	s_wait_alu 0xfffe
	s_or_b32 exec_lo, exec_lo, s6
	v_lshlrev_b64_e32 v[11:12], 12, v[11:12]
	v_dual_mov_b32 v8, v6 :: v_dual_lshlrev_b32 v31, 6, v32
	s_mov_b32 s8, 0
	s_wait_alu 0xfffe
	s_mov_b32 s11, s8
	s_delay_alu instid0(VALU_DEP_2)
	v_add_co_u32 v3, vcc_lo, v3, v11
	s_wait_alu 0xfffd
	v_add_co_ci_u32_e64 v4, null, v4, v12, vcc_lo
	s_mov_b32 s9, s8
	v_add_co_u32 v11, vcc_lo, v3, v31
	s_mov_b32 s10, s8
	s_wait_alu 0xfffe
	v_dual_mov_b32 v5, 33 :: v_dual_mov_b32 v16, s11
	v_dual_mov_b32 v7, v6 :: v_dual_mov_b32 v14, s9
	v_readfirstlane_b32 s6, v3
	v_readfirstlane_b32 s7, v4
	s_wait_alu 0xfffd
	v_add_co_ci_u32_e64 v12, null, 0, v4, vcc_lo
	v_mov_b32_e32 v15, s10
	v_mov_b32_e32 v13, s8
	s_clause 0x3
	global_store_b128 v31, v[5:8], s[6:7]
	global_store_b128 v31, v[13:16], s[6:7] offset:16
	global_store_b128 v31, v[13:16], s[6:7] offset:32
	global_store_b128 v31, v[13:16], s[6:7] offset:48
	s_and_saveexec_b32 s1, s0
	s_cbranch_execz .LBB2_121
; %bb.114:
	v_mov_b32_e32 v7, 0
	s_mov_b32 s6, exec_lo
	s_clause 0x1
	global_load_b64 v[15:16], v7, s[2:3] offset:32 scope:SCOPE_SYS
	global_load_b64 v[3:4], v7, s[2:3] offset:40
	v_dual_mov_b32 v14, s5 :: v_dual_mov_b32 v13, s4
	s_wait_loadcnt 0x0
	v_and_b32_e32 v4, s5, v4
	v_and_b32_e32 v3, s4, v3
	s_delay_alu instid0(VALU_DEP_2) | instskip(NEXT) | instid1(VALU_DEP_2)
	v_mul_lo_u32 v4, 24, v4
	v_mul_lo_u32 v5, 0, v3
	v_mul_hi_u32 v6, 24, v3
	v_mul_lo_u32 v3, 24, v3
	s_delay_alu instid0(VALU_DEP_3) | instskip(NEXT) | instid1(VALU_DEP_2)
	v_add_nc_u32_e32 v4, v4, v5
	v_add_co_u32 v5, vcc_lo, v1, v3
	s_delay_alu instid0(VALU_DEP_2) | instskip(SKIP_1) | instid1(VALU_DEP_1)
	v_add_nc_u32_e32 v4, v4, v6
	s_wait_alu 0xfffd
	v_add_co_ci_u32_e64 v6, null, v2, v4, vcc_lo
	global_store_b64 v[5:6], v[15:16], off
	global_wb scope:SCOPE_SYS
	s_wait_storecnt 0x0
	global_atomic_cmpswap_b64 v[3:4], v7, v[13:16], s[2:3] offset:32 th:TH_ATOMIC_RETURN scope:SCOPE_SYS
	s_wait_loadcnt 0x0
	v_cmpx_ne_u64_e64 v[3:4], v[15:16]
	s_cbranch_execz .LBB2_117
; %bb.115:
	s_mov_b32 s7, 0
.LBB2_116:                              ; =>This Inner Loop Header: Depth=1
	v_dual_mov_b32 v1, s4 :: v_dual_mov_b32 v2, s5
	s_sleep 1
	global_store_b64 v[5:6], v[3:4], off
	global_wb scope:SCOPE_SYS
	s_wait_storecnt 0x0
	global_atomic_cmpswap_b64 v[1:2], v7, v[1:4], s[2:3] offset:32 th:TH_ATOMIC_RETURN scope:SCOPE_SYS
	s_wait_loadcnt 0x0
	v_cmp_eq_u64_e32 vcc_lo, v[1:2], v[3:4]
	v_dual_mov_b32 v4, v2 :: v_dual_mov_b32 v3, v1
	s_wait_alu 0xfffe
	s_or_b32 s7, vcc_lo, s7
	s_wait_alu 0xfffe
	s_and_not1_b32 exec_lo, exec_lo, s7
	s_cbranch_execnz .LBB2_116
.LBB2_117:
	s_wait_alu 0xfffe
	s_or_b32 exec_lo, exec_lo, s6
	v_mov_b32_e32 v4, 0
	s_mov_b32 s7, exec_lo
	s_mov_b32 s6, exec_lo
	s_wait_alu 0xfffe
	v_mbcnt_lo_u32_b32 v3, s7, 0
	global_load_b64 v[1:2], v4, s[2:3] offset:16
	v_cmpx_eq_u32_e32 0, v3
	s_cbranch_execz .LBB2_119
; %bb.118:
	s_bcnt1_i32_b32 s7, s7
	s_wait_alu 0xfffe
	v_mov_b32_e32 v3, s7
	global_wb scope:SCOPE_SYS
	s_wait_loadcnt 0x0
	s_wait_storecnt 0x0
	global_atomic_add_u64 v[1:2], v[3:4], off offset:8 scope:SCOPE_SYS
.LBB2_119:
	s_or_b32 exec_lo, exec_lo, s6
	s_wait_loadcnt 0x0
	global_load_b64 v[3:4], v[1:2], off offset:16
	s_wait_loadcnt 0x0
	v_cmp_eq_u64_e32 vcc_lo, 0, v[3:4]
	s_cbranch_vccnz .LBB2_121
; %bb.120:
	global_load_b32 v1, v[1:2], off offset:24
	v_mov_b32_e32 v2, 0
	s_wait_loadcnt 0x0
	v_readfirstlane_b32 s6, v1
	global_wb scope:SCOPE_SYS
	s_wait_storecnt 0x0
	global_store_b64 v[3:4], v[1:2], off scope:SCOPE_SYS
	s_and_b32 m0, s6, 0xffffff
	s_sendmsg sendmsg(MSG_INTERRUPT)
.LBB2_121:
	s_wait_alu 0xfffe
	s_or_b32 exec_lo, exec_lo, s1
	s_branch .LBB2_123
.LBB2_122:
	s_branch .LBB2_127
.LBB2_123:                              ; =>This Inner Loop Header: Depth=1
	v_mov_b32_e32 v1, 1
	s_and_saveexec_b32 s1, s0
	s_cbranch_execz .LBB2_125
; %bb.124:                              ;   in Loop: Header=BB2_123 Depth=1
	global_load_b32 v1, v[9:10], off offset:20 scope:SCOPE_SYS
	s_wait_loadcnt 0x0
	global_inv scope:SCOPE_SYS
	v_and_b32_e32 v1, 1, v1
.LBB2_125:                              ;   in Loop: Header=BB2_123 Depth=1
	s_wait_alu 0xfffe
	s_or_b32 exec_lo, exec_lo, s1
	s_delay_alu instid0(VALU_DEP_1)
	v_readfirstlane_b32 s1, v1
	s_cmp_eq_u32 s1, 0
	s_cbranch_scc1 .LBB2_122
; %bb.126:                              ;   in Loop: Header=BB2_123 Depth=1
	s_sleep 1
	s_cbranch_execnz .LBB2_123
.LBB2_127:
	global_load_b64 v[1:2], v[11:12], off
	s_and_saveexec_b32 s6, s0
	s_cbranch_execz .LBB2_131
; %bb.128:
	v_mov_b32_e32 v9, 0
	s_clause 0x2
	global_load_b64 v[3:4], v9, s[2:3] offset:40
	global_load_b64 v[12:13], v9, s[2:3] offset:24 scope:SCOPE_SYS
	global_load_b64 v[5:6], v9, s[2:3]
	s_wait_loadcnt 0x2
	v_readfirstlane_b32 s8, v3
	v_readfirstlane_b32 s9, v4
	s_add_nc_u64 s[0:1], s[8:9], 1
	s_wait_alu 0xfffe
	s_add_nc_u64 s[4:5], s[0:1], s[4:5]
	s_wait_alu 0xfffe
	s_cmp_eq_u64 s[4:5], 0
	s_cselect_b32 s1, s1, s5
	s_cselect_b32 s0, s0, s4
	s_wait_alu 0xfffe
	v_mov_b32_e32 v11, s1
	s_and_b64 s[4:5], s[0:1], s[8:9]
	v_mov_b32_e32 v10, s0
	s_wait_alu 0xfffe
	s_mul_u64 s[4:5], s[4:5], 24
	s_wait_loadcnt 0x0
	s_wait_alu 0xfffe
	v_add_co_u32 v7, vcc_lo, v5, s4
	s_wait_alu 0xfffd
	v_add_co_ci_u32_e64 v8, null, s5, v6, vcc_lo
	global_store_b64 v[7:8], v[12:13], off
	global_wb scope:SCOPE_SYS
	s_wait_storecnt 0x0
	global_atomic_cmpswap_b64 v[5:6], v9, v[10:13], s[2:3] offset:24 th:TH_ATOMIC_RETURN scope:SCOPE_SYS
	s_wait_loadcnt 0x0
	v_cmp_ne_u64_e32 vcc_lo, v[5:6], v[12:13]
	s_and_b32 exec_lo, exec_lo, vcc_lo
	s_cbranch_execz .LBB2_131
; %bb.129:
	s_mov_b32 s4, 0
.LBB2_130:                              ; =>This Inner Loop Header: Depth=1
	v_dual_mov_b32 v3, s0 :: v_dual_mov_b32 v4, s1
	s_sleep 1
	global_store_b64 v[7:8], v[5:6], off
	global_wb scope:SCOPE_SYS
	s_wait_storecnt 0x0
	global_atomic_cmpswap_b64 v[3:4], v9, v[3:6], s[2:3] offset:24 th:TH_ATOMIC_RETURN scope:SCOPE_SYS
	s_wait_loadcnt 0x0
	v_cmp_eq_u64_e32 vcc_lo, v[3:4], v[5:6]
	v_dual_mov_b32 v6, v4 :: v_dual_mov_b32 v5, v3
	s_wait_alu 0xfffe
	s_or_b32 s4, vcc_lo, s4
	s_wait_alu 0xfffe
	s_and_not1_b32 exec_lo, exec_lo, s4
	s_cbranch_execnz .LBB2_130
.LBB2_131:
	s_wait_alu 0xfffe
	s_or_b32 exec_lo, exec_lo, s6
	s_getpc_b64 s[4:5]
	s_wait_alu 0xfffe
	s_sext_i32_i16 s5, s5
	s_add_co_u32 s4, s4, .str.28@rel32@lo+12
	s_wait_alu 0xfffe
	s_add_co_ci_u32 s5, s5, .str.28@rel32@hi+24
	s_wait_alu 0xfffe
	s_cmp_lg_u64 s[4:5], 0
	s_cbranch_scc0 .LBB2_211
; %bb.132:
	s_wait_loadcnt 0x0
	v_dual_mov_b32 v8, v2 :: v_dual_and_b32 v7, -3, v1
	v_dual_mov_b32 v4, 0 :: v_dual_mov_b32 v5, 2
	v_mov_b32_e32 v6, 1
	s_mov_b64 s[6:7], 35
	s_branch .LBB2_134
.LBB2_133:                              ;   in Loop: Header=BB2_134 Depth=1
	s_wait_alu 0xfffe
	s_or_b32 exec_lo, exec_lo, s12
	s_sub_nc_u64 s[6:7], s[6:7], s[8:9]
	s_add_nc_u64 s[4:5], s[4:5], s[8:9]
	s_wait_alu 0xfffe
	s_cmp_lg_u64 s[6:7], 0
	s_cbranch_scc0 .LBB2_210
.LBB2_134:                              ; =>This Loop Header: Depth=1
                                        ;     Child Loop BB2_137 Depth 2
                                        ;     Child Loop BB2_144 Depth 2
	;; [unrolled: 1-line block ×11, first 2 shown]
	s_wait_alu 0xfffe
	v_cmp_lt_u64_e64 s0, s[6:7], 56
	v_cmp_gt_u64_e64 s1, s[6:7], 7
	s_and_b32 s0, s0, exec_lo
	s_cselect_b32 s9, s7, 0
	s_cselect_b32 s8, s6, 56
	s_and_b32 vcc_lo, exec_lo, s1
	s_wait_alu 0xfffe
	s_cbranch_vccnz .LBB2_139
; %bb.135:                              ;   in Loop: Header=BB2_134 Depth=1
	s_wait_loadcnt 0x0
	v_mov_b32_e32 v9, 0
	v_mov_b32_e32 v10, 0
	s_cmp_eq_u64 s[6:7], 0
	s_cbranch_scc1 .LBB2_138
; %bb.136:                              ;   in Loop: Header=BB2_134 Depth=1
	s_mov_b64 s[0:1], 0
	s_mov_b64 s[10:11], 0
.LBB2_137:                              ;   Parent Loop BB2_134 Depth=1
                                        ; =>  This Inner Loop Header: Depth=2
	s_wait_alu 0xfffe
	s_add_nc_u64 s[12:13], s[4:5], s[10:11]
	s_add_nc_u64 s[10:11], s[10:11], 1
	global_load_u8 v3, v4, s[12:13]
	s_wait_alu 0xfffe
	s_cmp_lg_u32 s8, s10
	s_wait_loadcnt 0x0
	v_and_b32_e32 v3, 0xffff, v3
	s_delay_alu instid0(VALU_DEP_1) | instskip(SKIP_1) | instid1(VALU_DEP_1)
	v_lshlrev_b64_e32 v[11:12], s0, v[3:4]
	s_add_nc_u64 s[0:1], s[0:1], 8
	v_or_b32_e32 v9, v11, v9
	s_delay_alu instid0(VALU_DEP_2)
	v_or_b32_e32 v10, v12, v10
	s_cbranch_scc1 .LBB2_137
.LBB2_138:                              ;   in Loop: Header=BB2_134 Depth=1
	s_mov_b64 s[10:11], s[4:5]
	s_mov_b32 s14, 0
	s_cbranch_execz .LBB2_140
	s_branch .LBB2_141
.LBB2_139:                              ;   in Loop: Header=BB2_134 Depth=1
	s_add_nc_u64 s[10:11], s[4:5], 8
	s_mov_b32 s14, 0
.LBB2_140:                              ;   in Loop: Header=BB2_134 Depth=1
	s_wait_loadcnt 0x0
	global_load_b64 v[9:10], v4, s[4:5]
	s_add_co_i32 s14, s8, -8
.LBB2_141:                              ;   in Loop: Header=BB2_134 Depth=1
	s_wait_alu 0xfffe
	s_cmp_gt_u32 s14, 7
	s_cbranch_scc1 .LBB2_146
; %bb.142:                              ;   in Loop: Header=BB2_134 Depth=1
	v_mov_b32_e32 v11, 0
	v_mov_b32_e32 v12, 0
	s_cmp_eq_u32 s14, 0
	s_cbranch_scc1 .LBB2_145
; %bb.143:                              ;   in Loop: Header=BB2_134 Depth=1
	s_mov_b64 s[0:1], 0
	s_mov_b64 s[12:13], 0
.LBB2_144:                              ;   Parent Loop BB2_134 Depth=1
                                        ; =>  This Inner Loop Header: Depth=2
	s_wait_alu 0xfffe
	s_add_nc_u64 s[22:23], s[10:11], s[12:13]
	s_add_nc_u64 s[12:13], s[12:13], 1
	global_load_u8 v3, v4, s[22:23]
	s_wait_alu 0xfffe
	s_cmp_lg_u32 s14, s12
	s_wait_loadcnt 0x0
	v_and_b32_e32 v3, 0xffff, v3
	s_delay_alu instid0(VALU_DEP_1) | instskip(SKIP_1) | instid1(VALU_DEP_1)
	v_lshlrev_b64_e32 v[13:14], s0, v[3:4]
	s_add_nc_u64 s[0:1], s[0:1], 8
	v_or_b32_e32 v11, v13, v11
	s_delay_alu instid0(VALU_DEP_2)
	v_or_b32_e32 v12, v14, v12
	s_cbranch_scc1 .LBB2_144
.LBB2_145:                              ;   in Loop: Header=BB2_134 Depth=1
	s_mov_b64 s[0:1], s[10:11]
	s_mov_b32 s15, 0
	s_cbranch_execz .LBB2_147
	s_branch .LBB2_148
.LBB2_146:                              ;   in Loop: Header=BB2_134 Depth=1
	s_add_nc_u64 s[0:1], s[10:11], 8
                                        ; implicit-def: $vgpr11_vgpr12
	s_mov_b32 s15, 0
.LBB2_147:                              ;   in Loop: Header=BB2_134 Depth=1
	global_load_b64 v[11:12], v4, s[10:11]
	s_add_co_i32 s15, s14, -8
.LBB2_148:                              ;   in Loop: Header=BB2_134 Depth=1
	s_wait_alu 0xfffe
	s_cmp_gt_u32 s15, 7
	s_cbranch_scc1 .LBB2_153
; %bb.149:                              ;   in Loop: Header=BB2_134 Depth=1
	v_mov_b32_e32 v13, 0
	v_mov_b32_e32 v14, 0
	s_cmp_eq_u32 s15, 0
	s_cbranch_scc1 .LBB2_152
; %bb.150:                              ;   in Loop: Header=BB2_134 Depth=1
	s_mov_b64 s[10:11], 0
	s_mov_b64 s[12:13], 0
.LBB2_151:                              ;   Parent Loop BB2_134 Depth=1
                                        ; =>  This Inner Loop Header: Depth=2
	s_wait_alu 0xfffe
	s_add_nc_u64 s[22:23], s[0:1], s[12:13]
	s_add_nc_u64 s[12:13], s[12:13], 1
	global_load_u8 v3, v4, s[22:23]
	s_wait_alu 0xfffe
	s_cmp_lg_u32 s15, s12
	s_wait_loadcnt 0x0
	v_and_b32_e32 v3, 0xffff, v3
	s_delay_alu instid0(VALU_DEP_1) | instskip(SKIP_1) | instid1(VALU_DEP_1)
	v_lshlrev_b64_e32 v[15:16], s10, v[3:4]
	s_add_nc_u64 s[10:11], s[10:11], 8
	v_or_b32_e32 v13, v15, v13
	s_delay_alu instid0(VALU_DEP_2)
	v_or_b32_e32 v14, v16, v14
	s_cbranch_scc1 .LBB2_151
.LBB2_152:                              ;   in Loop: Header=BB2_134 Depth=1
	s_mov_b64 s[10:11], s[0:1]
	s_mov_b32 s14, 0
	s_cbranch_execz .LBB2_154
	s_branch .LBB2_155
.LBB2_153:                              ;   in Loop: Header=BB2_134 Depth=1
	s_add_nc_u64 s[10:11], s[0:1], 8
	s_mov_b32 s14, 0
.LBB2_154:                              ;   in Loop: Header=BB2_134 Depth=1
	global_load_b64 v[13:14], v4, s[0:1]
	s_add_co_i32 s14, s15, -8
.LBB2_155:                              ;   in Loop: Header=BB2_134 Depth=1
	s_wait_alu 0xfffe
	s_cmp_gt_u32 s14, 7
	s_cbranch_scc1 .LBB2_160
; %bb.156:                              ;   in Loop: Header=BB2_134 Depth=1
	v_mov_b32_e32 v15, 0
	v_mov_b32_e32 v16, 0
	s_cmp_eq_u32 s14, 0
	s_cbranch_scc1 .LBB2_159
; %bb.157:                              ;   in Loop: Header=BB2_134 Depth=1
	s_mov_b64 s[0:1], 0
	s_mov_b64 s[12:13], 0
.LBB2_158:                              ;   Parent Loop BB2_134 Depth=1
                                        ; =>  This Inner Loop Header: Depth=2
	s_wait_alu 0xfffe
	s_add_nc_u64 s[22:23], s[10:11], s[12:13]
	s_add_nc_u64 s[12:13], s[12:13], 1
	global_load_u8 v3, v4, s[22:23]
	s_wait_alu 0xfffe
	s_cmp_lg_u32 s14, s12
	s_wait_loadcnt 0x0
	v_and_b32_e32 v3, 0xffff, v3
	s_delay_alu instid0(VALU_DEP_1) | instskip(SKIP_1) | instid1(VALU_DEP_1)
	v_lshlrev_b64_e32 v[17:18], s0, v[3:4]
	s_add_nc_u64 s[0:1], s[0:1], 8
	v_or_b32_e32 v15, v17, v15
	s_delay_alu instid0(VALU_DEP_2)
	v_or_b32_e32 v16, v18, v16
	s_cbranch_scc1 .LBB2_158
.LBB2_159:                              ;   in Loop: Header=BB2_134 Depth=1
	s_mov_b64 s[0:1], s[10:11]
	s_mov_b32 s15, 0
	s_cbranch_execz .LBB2_161
	s_branch .LBB2_162
.LBB2_160:                              ;   in Loop: Header=BB2_134 Depth=1
	s_add_nc_u64 s[0:1], s[10:11], 8
                                        ; implicit-def: $vgpr15_vgpr16
	s_mov_b32 s15, 0
.LBB2_161:                              ;   in Loop: Header=BB2_134 Depth=1
	global_load_b64 v[15:16], v4, s[10:11]
	s_add_co_i32 s15, s14, -8
.LBB2_162:                              ;   in Loop: Header=BB2_134 Depth=1
	s_wait_alu 0xfffe
	s_cmp_gt_u32 s15, 7
	s_cbranch_scc1 .LBB2_167
; %bb.163:                              ;   in Loop: Header=BB2_134 Depth=1
	v_mov_b32_e32 v17, 0
	v_mov_b32_e32 v18, 0
	s_cmp_eq_u32 s15, 0
	s_cbranch_scc1 .LBB2_166
; %bb.164:                              ;   in Loop: Header=BB2_134 Depth=1
	s_mov_b64 s[10:11], 0
	s_mov_b64 s[12:13], 0
.LBB2_165:                              ;   Parent Loop BB2_134 Depth=1
                                        ; =>  This Inner Loop Header: Depth=2
	s_wait_alu 0xfffe
	s_add_nc_u64 s[22:23], s[0:1], s[12:13]
	s_add_nc_u64 s[12:13], s[12:13], 1
	global_load_u8 v3, v4, s[22:23]
	s_wait_alu 0xfffe
	s_cmp_lg_u32 s15, s12
	s_wait_loadcnt 0x0
	v_and_b32_e32 v3, 0xffff, v3
	s_delay_alu instid0(VALU_DEP_1) | instskip(SKIP_1) | instid1(VALU_DEP_1)
	v_lshlrev_b64_e32 v[19:20], s10, v[3:4]
	s_add_nc_u64 s[10:11], s[10:11], 8
	v_or_b32_e32 v17, v19, v17
	s_delay_alu instid0(VALU_DEP_2)
	v_or_b32_e32 v18, v20, v18
	s_cbranch_scc1 .LBB2_165
.LBB2_166:                              ;   in Loop: Header=BB2_134 Depth=1
	s_mov_b64 s[10:11], s[0:1]
	s_mov_b32 s14, 0
	s_cbranch_execz .LBB2_168
	s_branch .LBB2_169
.LBB2_167:                              ;   in Loop: Header=BB2_134 Depth=1
	s_add_nc_u64 s[10:11], s[0:1], 8
	s_mov_b32 s14, 0
.LBB2_168:                              ;   in Loop: Header=BB2_134 Depth=1
	global_load_b64 v[17:18], v4, s[0:1]
	s_add_co_i32 s14, s15, -8
.LBB2_169:                              ;   in Loop: Header=BB2_134 Depth=1
	s_wait_alu 0xfffe
	s_cmp_gt_u32 s14, 7
	s_cbranch_scc1 .LBB2_174
; %bb.170:                              ;   in Loop: Header=BB2_134 Depth=1
	v_mov_b32_e32 v19, 0
	v_mov_b32_e32 v20, 0
	s_cmp_eq_u32 s14, 0
	s_cbranch_scc1 .LBB2_173
; %bb.171:                              ;   in Loop: Header=BB2_134 Depth=1
	s_mov_b64 s[0:1], 0
	s_mov_b64 s[12:13], 0
.LBB2_172:                              ;   Parent Loop BB2_134 Depth=1
                                        ; =>  This Inner Loop Header: Depth=2
	s_wait_alu 0xfffe
	s_add_nc_u64 s[22:23], s[10:11], s[12:13]
	s_add_nc_u64 s[12:13], s[12:13], 1
	global_load_u8 v3, v4, s[22:23]
	s_wait_alu 0xfffe
	s_cmp_lg_u32 s14, s12
	s_wait_loadcnt 0x0
	v_and_b32_e32 v3, 0xffff, v3
	s_delay_alu instid0(VALU_DEP_1) | instskip(SKIP_1) | instid1(VALU_DEP_1)
	v_lshlrev_b64_e32 v[21:22], s0, v[3:4]
	s_add_nc_u64 s[0:1], s[0:1], 8
	v_or_b32_e32 v19, v21, v19
	s_delay_alu instid0(VALU_DEP_2)
	v_or_b32_e32 v20, v22, v20
	s_cbranch_scc1 .LBB2_172
.LBB2_173:                              ;   in Loop: Header=BB2_134 Depth=1
	s_mov_b64 s[0:1], s[10:11]
	s_mov_b32 s15, 0
	s_cbranch_execz .LBB2_175
	s_branch .LBB2_176
.LBB2_174:                              ;   in Loop: Header=BB2_134 Depth=1
	s_add_nc_u64 s[0:1], s[10:11], 8
                                        ; implicit-def: $vgpr19_vgpr20
	s_mov_b32 s15, 0
.LBB2_175:                              ;   in Loop: Header=BB2_134 Depth=1
	global_load_b64 v[19:20], v4, s[10:11]
	s_add_co_i32 s15, s14, -8
.LBB2_176:                              ;   in Loop: Header=BB2_134 Depth=1
	s_wait_alu 0xfffe
	s_cmp_gt_u32 s15, 7
	s_cbranch_scc1 .LBB2_181
; %bb.177:                              ;   in Loop: Header=BB2_134 Depth=1
	v_mov_b32_e32 v21, 0
	v_mov_b32_e32 v22, 0
	s_cmp_eq_u32 s15, 0
	s_cbranch_scc1 .LBB2_180
; %bb.178:                              ;   in Loop: Header=BB2_134 Depth=1
	s_mov_b64 s[10:11], 0
	s_mov_b64 s[12:13], s[0:1]
.LBB2_179:                              ;   Parent Loop BB2_134 Depth=1
                                        ; =>  This Inner Loop Header: Depth=2
	global_load_u8 v3, v4, s[12:13]
	s_add_co_i32 s15, s15, -1
	s_wait_alu 0xfffe
	s_add_nc_u64 s[12:13], s[12:13], 1
	s_cmp_lg_u32 s15, 0
	s_wait_loadcnt 0x0
	v_and_b32_e32 v3, 0xffff, v3
	s_delay_alu instid0(VALU_DEP_1) | instskip(SKIP_1) | instid1(VALU_DEP_1)
	v_lshlrev_b64_e32 v[23:24], s10, v[3:4]
	s_add_nc_u64 s[10:11], s[10:11], 8
	v_or_b32_e32 v21, v23, v21
	s_delay_alu instid0(VALU_DEP_2)
	v_or_b32_e32 v22, v24, v22
	s_cbranch_scc1 .LBB2_179
.LBB2_180:                              ;   in Loop: Header=BB2_134 Depth=1
	s_cbranch_execz .LBB2_182
	s_branch .LBB2_183
.LBB2_181:                              ;   in Loop: Header=BB2_134 Depth=1
.LBB2_182:                              ;   in Loop: Header=BB2_134 Depth=1
	global_load_b64 v[21:22], v4, s[0:1]
.LBB2_183:                              ;   in Loop: Header=BB2_134 Depth=1
	v_readfirstlane_b32 s0, v32
	v_mov_b32_e32 v27, 0
	v_mov_b32_e32 v28, 0
	s_wait_alu 0xf1ff
	s_delay_alu instid0(VALU_DEP_3)
	v_cmp_eq_u32_e64 s0, s0, v32
	s_and_saveexec_b32 s1, s0
	s_cbranch_execz .LBB2_189
; %bb.184:                              ;   in Loop: Header=BB2_134 Depth=1
	global_load_b64 v[25:26], v4, s[2:3] offset:24 scope:SCOPE_SYS
	s_wait_loadcnt 0x0
	global_inv scope:SCOPE_SYS
	s_clause 0x1
	global_load_b64 v[23:24], v4, s[2:3] offset:40
	global_load_b64 v[27:28], v4, s[2:3]
	s_mov_b32 s10, exec_lo
	s_wait_loadcnt 0x1
	v_and_b32_e32 v3, v24, v26
	v_and_b32_e32 v23, v23, v25
	s_delay_alu instid0(VALU_DEP_2) | instskip(NEXT) | instid1(VALU_DEP_2)
	v_mul_lo_u32 v3, 24, v3
	v_mul_lo_u32 v24, 0, v23
	v_mul_hi_u32 v29, 24, v23
	v_mul_lo_u32 v23, 24, v23
	s_delay_alu instid0(VALU_DEP_3) | instskip(SKIP_1) | instid1(VALU_DEP_2)
	v_add_nc_u32_e32 v3, v3, v24
	s_wait_loadcnt 0x0
	v_add_co_u32 v23, vcc_lo, v27, v23
	s_delay_alu instid0(VALU_DEP_2) | instskip(SKIP_1) | instid1(VALU_DEP_1)
	v_add_nc_u32_e32 v3, v3, v29
	s_wait_alu 0xfffd
	v_add_co_ci_u32_e64 v24, null, v28, v3, vcc_lo
	global_load_b64 v[23:24], v[23:24], off scope:SCOPE_SYS
	s_wait_loadcnt 0x0
	global_atomic_cmpswap_b64 v[27:28], v4, v[23:26], s[2:3] offset:24 th:TH_ATOMIC_RETURN scope:SCOPE_SYS
	s_wait_loadcnt 0x0
	global_inv scope:SCOPE_SYS
	v_cmpx_ne_u64_e64 v[27:28], v[25:26]
	s_cbranch_execz .LBB2_188
; %bb.185:                              ;   in Loop: Header=BB2_134 Depth=1
	s_mov_b32 s11, 0
.LBB2_186:                              ;   Parent Loop BB2_134 Depth=1
                                        ; =>  This Inner Loop Header: Depth=2
	s_sleep 1
	s_clause 0x1
	global_load_b64 v[23:24], v4, s[2:3] offset:40
	global_load_b64 v[29:30], v4, s[2:3]
	v_dual_mov_b32 v25, v27 :: v_dual_mov_b32 v26, v28
	s_wait_loadcnt 0x1
	s_delay_alu instid0(VALU_DEP_1) | instskip(NEXT) | instid1(VALU_DEP_2)
	v_and_b32_e32 v3, v23, v25
	v_and_b32_e32 v23, v24, v26
	s_wait_loadcnt 0x0
	s_delay_alu instid0(VALU_DEP_2) | instskip(NEXT) | instid1(VALU_DEP_1)
	v_mad_co_u64_u32 v[27:28], null, v3, 24, v[29:30]
	v_mov_b32_e32 v3, v28
	s_delay_alu instid0(VALU_DEP_1) | instskip(NEXT) | instid1(VALU_DEP_1)
	v_mad_co_u64_u32 v[23:24], null, v23, 24, v[3:4]
	v_mov_b32_e32 v28, v23
	global_load_b64 v[23:24], v[27:28], off scope:SCOPE_SYS
	s_wait_loadcnt 0x0
	global_atomic_cmpswap_b64 v[27:28], v4, v[23:26], s[2:3] offset:24 th:TH_ATOMIC_RETURN scope:SCOPE_SYS
	s_wait_loadcnt 0x0
	global_inv scope:SCOPE_SYS
	v_cmp_eq_u64_e32 vcc_lo, v[27:28], v[25:26]
	s_wait_alu 0xfffe
	s_or_b32 s11, vcc_lo, s11
	s_wait_alu 0xfffe
	s_and_not1_b32 exec_lo, exec_lo, s11
	s_cbranch_execnz .LBB2_186
; %bb.187:                              ;   in Loop: Header=BB2_134 Depth=1
	s_or_b32 exec_lo, exec_lo, s11
.LBB2_188:                              ;   in Loop: Header=BB2_134 Depth=1
	s_wait_alu 0xfffe
	s_or_b32 exec_lo, exec_lo, s10
.LBB2_189:                              ;   in Loop: Header=BB2_134 Depth=1
	s_wait_alu 0xfffe
	s_or_b32 exec_lo, exec_lo, s1
	s_clause 0x1
	global_load_b64 v[29:30], v4, s[2:3] offset:40
	global_load_b128 v[23:26], v4, s[2:3]
	v_readfirstlane_b32 s11, v28
	v_readfirstlane_b32 s10, v27
	s_mov_b32 s1, exec_lo
	s_wait_loadcnt 0x1
	s_wait_alu 0xf1ff
	v_and_b32_e32 v30, s11, v30
	v_and_b32_e32 v29, s10, v29
	s_delay_alu instid0(VALU_DEP_2) | instskip(NEXT) | instid1(VALU_DEP_2)
	v_mul_lo_u32 v3, 24, v30
	v_mul_lo_u32 v27, 0, v29
	v_mul_hi_u32 v28, 24, v29
	v_mul_lo_u32 v33, 24, v29
	s_delay_alu instid0(VALU_DEP_3) | instskip(SKIP_1) | instid1(VALU_DEP_2)
	v_add_nc_u32_e32 v3, v3, v27
	s_wait_loadcnt 0x0
	v_add_co_u32 v27, vcc_lo, v23, v33
	s_delay_alu instid0(VALU_DEP_2) | instskip(SKIP_1) | instid1(VALU_DEP_1)
	v_add_nc_u32_e32 v3, v3, v28
	s_wait_alu 0xfffd
	v_add_co_ci_u32_e64 v28, null, v24, v3, vcc_lo
	s_and_saveexec_b32 s12, s0
	s_cbranch_execz .LBB2_191
; %bb.190:                              ;   in Loop: Header=BB2_134 Depth=1
	s_wait_alu 0xfffe
	v_mov_b32_e32 v3, s1
	global_store_b128 v[27:28], v[3:6], off offset:8
.LBB2_191:                              ;   in Loop: Header=BB2_134 Depth=1
	s_wait_alu 0xfffe
	s_or_b32 exec_lo, exec_lo, s12
	v_cmp_gt_u64_e64 s1, s[6:7], 56
	v_lshlrev_b64_e32 v[29:30], 12, v[29:30]
	v_and_b32_e32 v3, 0xffffff1f, v7
	s_and_b32 s1, s1, exec_lo
	s_delay_alu instid0(VALU_DEP_2)
	v_add_co_u32 v25, vcc_lo, v25, v29
	s_cselect_b32 s1, 0, 2
	s_wait_alu 0xfffd
	v_add_co_ci_u32_e64 v26, null, v26, v30, vcc_lo
	s_wait_alu 0xfffe
	v_or_b32_e32 v3, s1, v3
	s_lshl_b32 s12, s8, 2
	s_wait_alu 0xfffe
	s_add_co_i32 s1, s12, 28
	v_readfirstlane_b32 s12, v25
	v_readfirstlane_b32 s13, v26
	s_wait_alu 0xfffe
	v_and_or_b32 v7, 0x1e0, s1, v3
	s_clause 0x3
	global_store_b128 v31, v[7:10], s[12:13]
	global_store_b128 v31, v[11:14], s[12:13] offset:16
	global_store_b128 v31, v[15:18], s[12:13] offset:32
	global_store_b128 v31, v[19:22], s[12:13] offset:48
	s_and_saveexec_b32 s1, s0
	s_cbranch_execz .LBB2_199
; %bb.192:                              ;   in Loop: Header=BB2_134 Depth=1
	s_clause 0x1
	global_load_b64 v[15:16], v4, s[2:3] offset:32 scope:SCOPE_SYS
	global_load_b64 v[7:8], v4, s[2:3] offset:40
	v_mov_b32_e32 v13, s10
	s_mov_b32 s12, exec_lo
	s_wait_loadcnt 0x0
	v_dual_mov_b32 v14, s11 :: v_dual_and_b32 v3, s11, v8
	v_and_b32_e32 v7, s10, v7
	s_delay_alu instid0(VALU_DEP_2) | instskip(NEXT) | instid1(VALU_DEP_2)
	v_mul_lo_u32 v3, 24, v3
	v_mul_lo_u32 v8, 0, v7
	v_mul_hi_u32 v9, 24, v7
	v_mul_lo_u32 v7, 24, v7
	s_delay_alu instid0(VALU_DEP_3) | instskip(NEXT) | instid1(VALU_DEP_2)
	v_add_nc_u32_e32 v3, v3, v8
	v_add_co_u32 v11, vcc_lo, v23, v7
	s_delay_alu instid0(VALU_DEP_2) | instskip(SKIP_1) | instid1(VALU_DEP_1)
	v_add_nc_u32_e32 v3, v3, v9
	s_wait_alu 0xfffd
	v_add_co_ci_u32_e64 v12, null, v24, v3, vcc_lo
	global_store_b64 v[11:12], v[15:16], off
	global_wb scope:SCOPE_SYS
	s_wait_storecnt 0x0
	global_atomic_cmpswap_b64 v[9:10], v4, v[13:16], s[2:3] offset:32 th:TH_ATOMIC_RETURN scope:SCOPE_SYS
	s_wait_loadcnt 0x0
	v_cmpx_ne_u64_e64 v[9:10], v[15:16]
	s_cbranch_execz .LBB2_195
; %bb.193:                              ;   in Loop: Header=BB2_134 Depth=1
	s_mov_b32 s13, 0
.LBB2_194:                              ;   Parent Loop BB2_134 Depth=1
                                        ; =>  This Inner Loop Header: Depth=2
	v_dual_mov_b32 v7, s10 :: v_dual_mov_b32 v8, s11
	s_sleep 1
	global_store_b64 v[11:12], v[9:10], off
	global_wb scope:SCOPE_SYS
	s_wait_storecnt 0x0
	global_atomic_cmpswap_b64 v[7:8], v4, v[7:10], s[2:3] offset:32 th:TH_ATOMIC_RETURN scope:SCOPE_SYS
	s_wait_loadcnt 0x0
	v_cmp_eq_u64_e32 vcc_lo, v[7:8], v[9:10]
	v_dual_mov_b32 v10, v8 :: v_dual_mov_b32 v9, v7
	s_wait_alu 0xfffe
	s_or_b32 s13, vcc_lo, s13
	s_wait_alu 0xfffe
	s_and_not1_b32 exec_lo, exec_lo, s13
	s_cbranch_execnz .LBB2_194
.LBB2_195:                              ;   in Loop: Header=BB2_134 Depth=1
	s_wait_alu 0xfffe
	s_or_b32 exec_lo, exec_lo, s12
	global_load_b64 v[7:8], v4, s[2:3] offset:16
	s_mov_b32 s13, exec_lo
	s_mov_b32 s12, exec_lo
	s_wait_alu 0xfffe
	v_mbcnt_lo_u32_b32 v3, s13, 0
	s_delay_alu instid0(VALU_DEP_1)
	v_cmpx_eq_u32_e32 0, v3
	s_cbranch_execz .LBB2_197
; %bb.196:                              ;   in Loop: Header=BB2_134 Depth=1
	s_bcnt1_i32_b32 s13, s13
	s_wait_alu 0xfffe
	v_mov_b32_e32 v3, s13
	global_wb scope:SCOPE_SYS
	s_wait_loadcnt 0x0
	s_wait_storecnt 0x0
	global_atomic_add_u64 v[7:8], v[3:4], off offset:8 scope:SCOPE_SYS
.LBB2_197:                              ;   in Loop: Header=BB2_134 Depth=1
	s_or_b32 exec_lo, exec_lo, s12
	s_wait_loadcnt 0x0
	global_load_b64 v[9:10], v[7:8], off offset:16
	s_wait_loadcnt 0x0
	v_cmp_eq_u64_e32 vcc_lo, 0, v[9:10]
	s_cbranch_vccnz .LBB2_199
; %bb.198:                              ;   in Loop: Header=BB2_134 Depth=1
	global_load_b32 v3, v[7:8], off offset:24
	s_wait_loadcnt 0x0
	v_readfirstlane_b32 s12, v3
	global_wb scope:SCOPE_SYS
	s_wait_storecnt 0x0
	global_store_b64 v[9:10], v[3:4], off scope:SCOPE_SYS
	s_and_b32 m0, s12, 0xffffff
	s_sendmsg sendmsg(MSG_INTERRUPT)
.LBB2_199:                              ;   in Loop: Header=BB2_134 Depth=1
	s_wait_alu 0xfffe
	s_or_b32 exec_lo, exec_lo, s1
	v_add_co_u32 v7, vcc_lo, v25, v31
	s_wait_alu 0xfffd
	v_add_co_ci_u32_e64 v8, null, 0, v26, vcc_lo
	s_branch .LBB2_201
.LBB2_200:                              ;   in Loop: Header=BB2_134 Depth=1
	s_branch .LBB2_205
.LBB2_201:                              ;   Parent Loop BB2_134 Depth=1
                                        ; =>  This Inner Loop Header: Depth=2
	v_mov_b32_e32 v3, 1
	s_and_saveexec_b32 s1, s0
	s_cbranch_execz .LBB2_203
; %bb.202:                              ;   in Loop: Header=BB2_201 Depth=2
	global_load_b32 v3, v[27:28], off offset:20 scope:SCOPE_SYS
	s_wait_loadcnt 0x0
	global_inv scope:SCOPE_SYS
	v_and_b32_e32 v3, 1, v3
.LBB2_203:                              ;   in Loop: Header=BB2_201 Depth=2
	s_wait_alu 0xfffe
	s_or_b32 exec_lo, exec_lo, s1
	s_delay_alu instid0(VALU_DEP_1)
	v_readfirstlane_b32 s1, v3
	s_cmp_eq_u32 s1, 0
	s_cbranch_scc1 .LBB2_200
; %bb.204:                              ;   in Loop: Header=BB2_201 Depth=2
	s_sleep 1
	s_cbranch_execnz .LBB2_201
.LBB2_205:                              ;   in Loop: Header=BB2_134 Depth=1
	global_load_b128 v[7:10], v[7:8], off
	s_and_saveexec_b32 s12, s0
	s_cbranch_execz .LBB2_133
; %bb.206:                              ;   in Loop: Header=BB2_134 Depth=1
	s_wait_loadcnt 0x0
	s_clause 0x2
	global_load_b64 v[9:10], v4, s[2:3] offset:40
	global_load_b64 v[17:18], v4, s[2:3] offset:24 scope:SCOPE_SYS
	global_load_b64 v[11:12], v4, s[2:3]
	s_wait_loadcnt 0x2
	v_readfirstlane_b32 s14, v9
	v_readfirstlane_b32 s15, v10
	s_add_nc_u64 s[0:1], s[14:15], 1
	s_wait_alu 0xfffe
	s_add_nc_u64 s[10:11], s[0:1], s[10:11]
	s_wait_alu 0xfffe
	s_cmp_eq_u64 s[10:11], 0
	s_cselect_b32 s1, s1, s11
	s_cselect_b32 s0, s0, s10
	s_wait_alu 0xfffe
	v_dual_mov_b32 v16, s1 :: v_dual_mov_b32 v15, s0
	s_and_b64 s[10:11], s[0:1], s[14:15]
	s_wait_alu 0xfffe
	s_mul_u64 s[10:11], s[10:11], 24
	s_wait_loadcnt 0x0
	s_wait_alu 0xfffe
	v_add_co_u32 v13, vcc_lo, v11, s10
	s_wait_alu 0xfffd
	v_add_co_ci_u32_e64 v14, null, s11, v12, vcc_lo
	global_store_b64 v[13:14], v[17:18], off
	global_wb scope:SCOPE_SYS
	s_wait_storecnt 0x0
	global_atomic_cmpswap_b64 v[11:12], v4, v[15:18], s[2:3] offset:24 th:TH_ATOMIC_RETURN scope:SCOPE_SYS
	s_wait_loadcnt 0x0
	v_cmp_ne_u64_e32 vcc_lo, v[11:12], v[17:18]
	s_and_b32 exec_lo, exec_lo, vcc_lo
	s_cbranch_execz .LBB2_133
; %bb.207:                              ;   in Loop: Header=BB2_134 Depth=1
	s_mov_b32 s10, 0
.LBB2_208:                              ;   Parent Loop BB2_134 Depth=1
                                        ; =>  This Inner Loop Header: Depth=2
	v_dual_mov_b32 v9, s0 :: v_dual_mov_b32 v10, s1
	s_sleep 1
	global_store_b64 v[13:14], v[11:12], off
	global_wb scope:SCOPE_SYS
	s_wait_storecnt 0x0
	global_atomic_cmpswap_b64 v[9:10], v4, v[9:12], s[2:3] offset:24 th:TH_ATOMIC_RETURN scope:SCOPE_SYS
	s_wait_loadcnt 0x0
	v_cmp_eq_u64_e32 vcc_lo, v[9:10], v[11:12]
	v_dual_mov_b32 v12, v10 :: v_dual_mov_b32 v11, v9
	s_wait_alu 0xfffe
	s_or_b32 s10, vcc_lo, s10
	s_wait_alu 0xfffe
	s_and_not1_b32 exec_lo, exec_lo, s10
	s_cbranch_execnz .LBB2_208
	s_branch .LBB2_133
.LBB2_209:
	s_or_b32 exec_lo, exec_lo, s12
	s_delay_alu instid0(SALU_CYCLE_1)
	s_mov_b32 s17, exec_lo
	s_wait_alu 0xfffe
	s_or_not1_b32 s0, s11, exec_lo
	s_or_b32 exec_lo, exec_lo, s10
	s_mov_b32 s48, s36
	s_wait_alu 0xfffe
	s_and_saveexec_b32 s18, s0
	s_cbranch_execz .LBB2_48
	s_branch .LBB2_47
.LBB2_210:
	s_mov_b32 s0, 0
	s_branch .LBB2_212
.LBB2_211:
	s_mov_b32 s0, -1
.LBB2_212:
	v_mov_b32_e32 v54, v0
	s_wait_alu 0xfffe
	s_and_b32 vcc_lo, exec_lo, s0
	s_wait_alu 0xfffe
	s_cbranch_vccz .LBB2_240
; %bb.213:
	v_readfirstlane_b32 s0, v32
	s_wait_loadcnt 0x0
	v_mov_b32_e32 v9, 0
	v_mov_b32_e32 v10, 0
	s_wait_alu 0xf1ff
	v_cmp_eq_u32_e64 s0, s0, v32
	s_and_saveexec_b32 s1, s0
	s_cbranch_execz .LBB2_219
; %bb.214:
	v_mov_b32_e32 v0, 0
	s_mov_b32 s4, exec_lo
	global_load_b64 v[5:6], v0, s[2:3] offset:24 scope:SCOPE_SYS
	s_wait_loadcnt 0x0
	global_inv scope:SCOPE_SYS
	s_clause 0x1
	global_load_b64 v[3:4], v0, s[2:3] offset:40
	global_load_b64 v[7:8], v0, s[2:3]
	s_wait_loadcnt 0x1
	v_and_b32_e32 v4, v4, v6
	v_and_b32_e32 v3, v3, v5
	s_delay_alu instid0(VALU_DEP_2) | instskip(NEXT) | instid1(VALU_DEP_2)
	v_mul_lo_u32 v4, 24, v4
	v_mul_lo_u32 v9, 0, v3
	v_mul_hi_u32 v10, 24, v3
	v_mul_lo_u32 v3, 24, v3
	s_delay_alu instid0(VALU_DEP_3) | instskip(SKIP_1) | instid1(VALU_DEP_2)
	v_add_nc_u32_e32 v4, v4, v9
	s_wait_loadcnt 0x0
	v_add_co_u32 v3, vcc_lo, v7, v3
	s_delay_alu instid0(VALU_DEP_2) | instskip(SKIP_1) | instid1(VALU_DEP_1)
	v_add_nc_u32_e32 v4, v4, v10
	s_wait_alu 0xfffd
	v_add_co_ci_u32_e64 v4, null, v8, v4, vcc_lo
	global_load_b64 v[3:4], v[3:4], off scope:SCOPE_SYS
	s_wait_loadcnt 0x0
	global_atomic_cmpswap_b64 v[9:10], v0, v[3:6], s[2:3] offset:24 th:TH_ATOMIC_RETURN scope:SCOPE_SYS
	s_wait_loadcnt 0x0
	global_inv scope:SCOPE_SYS
	v_cmpx_ne_u64_e64 v[9:10], v[5:6]
	s_cbranch_execz .LBB2_218
; %bb.215:
	s_mov_b32 s5, 0
.LBB2_216:                              ; =>This Inner Loop Header: Depth=1
	s_sleep 1
	s_clause 0x1
	global_load_b64 v[3:4], v0, s[2:3] offset:40
	global_load_b64 v[7:8], v0, s[2:3]
	v_dual_mov_b32 v5, v9 :: v_dual_mov_b32 v6, v10
	s_wait_loadcnt 0x1
	s_delay_alu instid0(VALU_DEP_1) | instskip(NEXT) | instid1(VALU_DEP_2)
	v_and_b32_e32 v3, v3, v5
	v_and_b32_e32 v4, v4, v6
	s_wait_loadcnt 0x0
	s_delay_alu instid0(VALU_DEP_2) | instskip(NEXT) | instid1(VALU_DEP_1)
	v_mad_co_u64_u32 v[7:8], null, v3, 24, v[7:8]
	v_mov_b32_e32 v3, v8
	s_delay_alu instid0(VALU_DEP_1) | instskip(NEXT) | instid1(VALU_DEP_1)
	v_mad_co_u64_u32 v[3:4], null, v4, 24, v[3:4]
	v_mov_b32_e32 v8, v3
	global_load_b64 v[3:4], v[7:8], off scope:SCOPE_SYS
	s_wait_loadcnt 0x0
	global_atomic_cmpswap_b64 v[9:10], v0, v[3:6], s[2:3] offset:24 th:TH_ATOMIC_RETURN scope:SCOPE_SYS
	s_wait_loadcnt 0x0
	global_inv scope:SCOPE_SYS
	v_cmp_eq_u64_e32 vcc_lo, v[9:10], v[5:6]
	s_wait_alu 0xfffe
	s_or_b32 s5, vcc_lo, s5
	s_wait_alu 0xfffe
	s_and_not1_b32 exec_lo, exec_lo, s5
	s_cbranch_execnz .LBB2_216
; %bb.217:
	s_or_b32 exec_lo, exec_lo, s5
.LBB2_218:
	s_wait_alu 0xfffe
	s_or_b32 exec_lo, exec_lo, s4
.LBB2_219:
	s_wait_alu 0xfffe
	s_or_b32 exec_lo, exec_lo, s1
	v_readfirstlane_b32 s5, v10
	v_mov_b32_e32 v3, 0
	v_readfirstlane_b32 s4, v9
	s_mov_b32 s1, exec_lo
	s_clause 0x1
	global_load_b64 v[11:12], v3, s[2:3] offset:40
	global_load_b128 v[5:8], v3, s[2:3]
	s_wait_loadcnt 0x1
	s_wait_alu 0xf1ff
	v_and_b32_e32 v12, s5, v12
	v_and_b32_e32 v11, s4, v11
	s_delay_alu instid0(VALU_DEP_2) | instskip(NEXT) | instid1(VALU_DEP_2)
	v_mul_lo_u32 v0, 24, v12
	v_mul_lo_u32 v4, 0, v11
	v_mul_hi_u32 v9, 24, v11
	v_mul_lo_u32 v10, 24, v11
	s_delay_alu instid0(VALU_DEP_3) | instskip(NEXT) | instid1(VALU_DEP_1)
	v_add_nc_u32_e32 v0, v0, v4
	v_add_nc_u32_e32 v0, v0, v9
	s_wait_loadcnt 0x0
	s_delay_alu instid0(VALU_DEP_3) | instskip(SKIP_1) | instid1(VALU_DEP_2)
	v_add_co_u32 v9, vcc_lo, v5, v10
	s_wait_alu 0xfffd
	v_add_co_ci_u32_e64 v10, null, v6, v0, vcc_lo
	s_and_saveexec_b32 s6, s0
	s_cbranch_execz .LBB2_221
; %bb.220:
	s_wait_alu 0xfffe
	v_dual_mov_b32 v13, s1 :: v_dual_mov_b32 v14, v3
	v_dual_mov_b32 v15, 2 :: v_dual_mov_b32 v16, 1
	global_store_b128 v[9:10], v[13:16], off offset:8
.LBB2_221:
	s_wait_alu 0xfffe
	s_or_b32 exec_lo, exec_lo, s6
	v_lshlrev_b64_e32 v[11:12], 12, v[11:12]
	s_mov_b32 s8, 0
	v_and_or_b32 v1, 0xffffff1d, v1, 34
	s_wait_alu 0xfffe
	s_mov_b32 s11, s8
	s_mov_b32 s9, s8
	;; [unrolled: 1-line block ×3, first 2 shown]
	v_add_co_u32 v0, vcc_lo, v7, v11
	s_wait_alu 0xfffd
	v_add_co_ci_u32_e64 v7, null, v8, v12, vcc_lo
	v_mov_b32_e32 v4, v3
	s_delay_alu instid0(VALU_DEP_3)
	v_readfirstlane_b32 s6, v0
	s_wait_alu 0xfffe
	v_dual_mov_b32 v14, s11 :: v_dual_mov_b32 v11, s8
	v_readfirstlane_b32 s7, v7
	v_dual_mov_b32 v13, s10 :: v_dual_mov_b32 v12, s9
	s_clause 0x3
	global_store_b128 v31, v[1:4], s[6:7]
	global_store_b128 v31, v[11:14], s[6:7] offset:16
	global_store_b128 v31, v[11:14], s[6:7] offset:32
	;; [unrolled: 1-line block ×3, first 2 shown]
	s_and_saveexec_b32 s1, s0
	s_cbranch_execz .LBB2_229
; %bb.222:
	v_mov_b32_e32 v7, 0
	v_mov_b32_e32 v11, s4
	s_mov_b32 s6, exec_lo
	s_clause 0x1
	global_load_b64 v[13:14], v7, s[2:3] offset:32 scope:SCOPE_SYS
	global_load_b64 v[0:1], v7, s[2:3] offset:40
	s_wait_loadcnt 0x0
	v_dual_mov_b32 v12, s5 :: v_dual_and_b32 v1, s5, v1
	v_and_b32_e32 v0, s4, v0
	s_delay_alu instid0(VALU_DEP_2) | instskip(NEXT) | instid1(VALU_DEP_2)
	v_mul_lo_u32 v1, 24, v1
	v_mul_lo_u32 v2, 0, v0
	v_mul_hi_u32 v3, 24, v0
	v_mul_lo_u32 v0, 24, v0
	s_delay_alu instid0(VALU_DEP_3) | instskip(NEXT) | instid1(VALU_DEP_2)
	v_add_nc_u32_e32 v1, v1, v2
	v_add_co_u32 v4, vcc_lo, v5, v0
	s_delay_alu instid0(VALU_DEP_2) | instskip(SKIP_1) | instid1(VALU_DEP_1)
	v_add_nc_u32_e32 v1, v1, v3
	s_wait_alu 0xfffd
	v_add_co_ci_u32_e64 v5, null, v6, v1, vcc_lo
	global_store_b64 v[4:5], v[13:14], off
	global_wb scope:SCOPE_SYS
	s_wait_storecnt 0x0
	global_atomic_cmpswap_b64 v[2:3], v7, v[11:14], s[2:3] offset:32 th:TH_ATOMIC_RETURN scope:SCOPE_SYS
	s_wait_loadcnt 0x0
	v_cmpx_ne_u64_e64 v[2:3], v[13:14]
	s_cbranch_execz .LBB2_225
; %bb.223:
	s_mov_b32 s7, 0
.LBB2_224:                              ; =>This Inner Loop Header: Depth=1
	v_dual_mov_b32 v0, s4 :: v_dual_mov_b32 v1, s5
	s_sleep 1
	global_store_b64 v[4:5], v[2:3], off
	global_wb scope:SCOPE_SYS
	s_wait_storecnt 0x0
	global_atomic_cmpswap_b64 v[0:1], v7, v[0:3], s[2:3] offset:32 th:TH_ATOMIC_RETURN scope:SCOPE_SYS
	s_wait_loadcnt 0x0
	v_cmp_eq_u64_e32 vcc_lo, v[0:1], v[2:3]
	v_dual_mov_b32 v3, v1 :: v_dual_mov_b32 v2, v0
	s_wait_alu 0xfffe
	s_or_b32 s7, vcc_lo, s7
	s_wait_alu 0xfffe
	s_and_not1_b32 exec_lo, exec_lo, s7
	s_cbranch_execnz .LBB2_224
.LBB2_225:
	s_wait_alu 0xfffe
	s_or_b32 exec_lo, exec_lo, s6
	v_mov_b32_e32 v3, 0
	s_mov_b32 s7, exec_lo
	s_mov_b32 s6, exec_lo
	s_wait_alu 0xfffe
	v_mbcnt_lo_u32_b32 v2, s7, 0
	global_load_b64 v[0:1], v3, s[2:3] offset:16
	v_cmpx_eq_u32_e32 0, v2
	s_cbranch_execz .LBB2_227
; %bb.226:
	s_bcnt1_i32_b32 s7, s7
	s_wait_alu 0xfffe
	v_mov_b32_e32 v2, s7
	global_wb scope:SCOPE_SYS
	s_wait_loadcnt 0x0
	s_wait_storecnt 0x0
	global_atomic_add_u64 v[0:1], v[2:3], off offset:8 scope:SCOPE_SYS
.LBB2_227:
	s_or_b32 exec_lo, exec_lo, s6
	s_wait_loadcnt 0x0
	global_load_b64 v[2:3], v[0:1], off offset:16
	s_wait_loadcnt 0x0
	v_cmp_eq_u64_e32 vcc_lo, 0, v[2:3]
	s_cbranch_vccnz .LBB2_229
; %bb.228:
	global_load_b32 v0, v[0:1], off offset:24
	v_mov_b32_e32 v1, 0
	s_wait_loadcnt 0x0
	v_readfirstlane_b32 s6, v0
	global_wb scope:SCOPE_SYS
	s_wait_storecnt 0x0
	global_store_b64 v[2:3], v[0:1], off scope:SCOPE_SYS
	s_and_b32 m0, s6, 0xffffff
	s_sendmsg sendmsg(MSG_INTERRUPT)
.LBB2_229:
	s_wait_alu 0xfffe
	s_or_b32 exec_lo, exec_lo, s1
	s_branch .LBB2_231
.LBB2_230:
	s_branch .LBB2_235
.LBB2_231:                              ; =>This Inner Loop Header: Depth=1
	v_mov_b32_e32 v0, 1
	s_and_saveexec_b32 s1, s0
	s_cbranch_execz .LBB2_233
; %bb.232:                              ;   in Loop: Header=BB2_231 Depth=1
	global_load_b32 v0, v[9:10], off offset:20 scope:SCOPE_SYS
	s_wait_loadcnt 0x0
	global_inv scope:SCOPE_SYS
	v_and_b32_e32 v0, 1, v0
.LBB2_233:                              ;   in Loop: Header=BB2_231 Depth=1
	s_wait_alu 0xfffe
	s_or_b32 exec_lo, exec_lo, s1
	s_delay_alu instid0(VALU_DEP_1)
	v_readfirstlane_b32 s1, v0
	s_cmp_eq_u32 s1, 0
	s_cbranch_scc1 .LBB2_230
; %bb.234:                              ;   in Loop: Header=BB2_231 Depth=1
	s_sleep 1
	s_cbranch_execnz .LBB2_231
.LBB2_235:
	s_and_saveexec_b32 s6, s0
	s_cbranch_execz .LBB2_239
; %bb.236:
	v_mov_b32_e32 v6, 0
	s_clause 0x2
	global_load_b64 v[0:1], v6, s[2:3] offset:40
	global_load_b64 v[9:10], v6, s[2:3] offset:24 scope:SCOPE_SYS
	global_load_b64 v[2:3], v6, s[2:3]
	s_wait_loadcnt 0x2
	v_readfirstlane_b32 s8, v0
	v_readfirstlane_b32 s9, v1
	s_add_nc_u64 s[0:1], s[8:9], 1
	s_wait_alu 0xfffe
	s_add_nc_u64 s[4:5], s[0:1], s[4:5]
	s_wait_alu 0xfffe
	s_cmp_eq_u64 s[4:5], 0
	s_cselect_b32 s1, s1, s5
	s_cselect_b32 s0, s0, s4
	s_wait_alu 0xfffe
	v_mov_b32_e32 v8, s1
	s_and_b64 s[4:5], s[0:1], s[8:9]
	v_mov_b32_e32 v7, s0
	s_wait_alu 0xfffe
	s_mul_u64 s[4:5], s[4:5], 24
	s_wait_loadcnt 0x0
	s_wait_alu 0xfffe
	v_add_co_u32 v4, vcc_lo, v2, s4
	s_wait_alu 0xfffd
	v_add_co_ci_u32_e64 v5, null, s5, v3, vcc_lo
	global_store_b64 v[4:5], v[9:10], off
	global_wb scope:SCOPE_SYS
	s_wait_storecnt 0x0
	global_atomic_cmpswap_b64 v[2:3], v6, v[7:10], s[2:3] offset:24 th:TH_ATOMIC_RETURN scope:SCOPE_SYS
	s_wait_loadcnt 0x0
	v_cmp_ne_u64_e32 vcc_lo, v[2:3], v[9:10]
	s_and_b32 exec_lo, exec_lo, vcc_lo
	s_cbranch_execz .LBB2_239
; %bb.237:
	s_mov_b32 s4, 0
.LBB2_238:                              ; =>This Inner Loop Header: Depth=1
	v_dual_mov_b32 v0, s0 :: v_dual_mov_b32 v1, s1
	s_sleep 1
	global_store_b64 v[4:5], v[2:3], off
	global_wb scope:SCOPE_SYS
	s_wait_storecnt 0x0
	global_atomic_cmpswap_b64 v[0:1], v6, v[0:3], s[2:3] offset:24 th:TH_ATOMIC_RETURN scope:SCOPE_SYS
	s_wait_loadcnt 0x0
	v_cmp_eq_u64_e32 vcc_lo, v[0:1], v[2:3]
	v_dual_mov_b32 v3, v1 :: v_dual_mov_b32 v2, v0
	s_wait_alu 0xfffe
	s_or_b32 s4, vcc_lo, s4
	s_wait_alu 0xfffe
	s_and_not1_b32 exec_lo, exec_lo, s4
	s_cbranch_execnz .LBB2_238
.LBB2_239:
	s_wait_alu 0xfffe
	s_or_b32 exec_lo, exec_lo, s6
.LBB2_240:
	s_getpc_b64 s[0:1]
	s_wait_alu 0xfffe
	s_sext_i32_i16 s1, s1
	s_add_co_u32 s0, s0, .str.29@rel32@lo+12
	s_wait_alu 0xfffe
	s_add_co_ci_u32 s1, s1, .str.29@rel32@hi+24
	s_getpc_b64 s[2:3]
	s_wait_alu 0xfffe
	s_sext_i32_i16 s3, s3
	s_add_co_u32 s2, s2, .str.19@rel32@lo+12
	s_wait_alu 0xfffe
	s_add_co_ci_u32 s3, s3, .str.19@rel32@hi+24
	s_getpc_b64 s[4:5]
	s_wait_alu 0xfffe
	s_sext_i32_i16 s5, s5
	s_add_co_u32 s4, s4, __PRETTY_FUNCTION__._ZN7VecsMemIjLi8192EE5fetchEi@rel32@lo+12
	s_wait_alu 0xfffe
	s_add_co_ci_u32 s5, s5, __PRETTY_FUNCTION__._ZN7VecsMemIjLi8192EE5fetchEi@rel32@hi+24
	s_wait_loadcnt 0x0
	v_dual_mov_b32 v0, s0 :: v_dual_mov_b32 v1, s1
	v_dual_mov_b32 v2, s2 :: v_dual_mov_b32 v3, s3
	v_dual_mov_b32 v4, 12 :: v_dual_mov_b32 v5, s4
	s_wait_alu 0xfffe
	v_mov_b32_e32 v6, s5
	s_getpc_b64 s[6:7]
	s_wait_alu 0xfffe
	s_sext_i32_i16 s7, s7
	s_add_co_u32 s6, s6, __assert_fail@rel32@lo+12
	s_wait_alu 0xfffe
	s_add_co_ci_u32 s7, s7, __assert_fail@rel32@hi+24
	s_mov_b64 s[8:9], s[34:35]
	s_wait_alu 0xfffe
	s_swappc_b64 s[30:31], s[6:7]
	v_mov_b32_e32 v0, v54
	s_or_b32 s0, s48, exec_lo
.LBB2_241:
	s_or_b32 exec_lo, exec_lo, s20
	s_delay_alu instid0(SALU_CYCLE_1)
	s_and_not1_b32 s1, s48, exec_lo
	s_wait_alu 0xfffe
	s_and_b32 s0, s0, exec_lo
	s_wait_alu 0xfffe
	s_or_b32 s20, s1, s0
	s_or_not1_b32 s0, s19, exec_lo
.LBB2_242:
	s_wait_alu 0xfffe
	s_or_b32 exec_lo, exec_lo, s18
                                        ; implicit-def: $vgpr64
                                        ; implicit-def: $vgpr54
	s_and_saveexec_b32 s18, s0
	s_cbranch_execz .LBB2_264
; %bb.243:
	s_mov_b32 s19, 0
	s_mov_b32 s21, s20
	flat_store_b64 v[41:42], v[66:67] offset:8
                                        ; implicit-def: $vgpr64
                                        ; implicit-def: $vgpr54
	s_mov_b32 s0, exec_lo
	v_cmpx_ne_u64_e32 0, v[66:67]
	s_wait_alu 0xfffe
	s_xor_b32 s17, exec_lo, s0
	s_cbranch_execz .LBB2_261
; %bb.244:
	v_mov_b32_e32 v1, 0
	v_lshlrev_b32_e32 v5, 1, v43
	s_mov_b32 s1, exec_lo
	v_cmpx_lt_i32_e32 0, v68
	s_cbranch_execz .LBB2_248
; %bb.245:
	scratch_load_b64 v[1:2], off, s33 offset:56
	v_mov_b32_e32 v3, v66
	v_lshlrev_b32_e64 v6, v5, 1
	v_dual_mov_b32 v7, v68 :: v_dual_mov_b32 v4, v67
	s_mov_b32 s2, 0
.LBB2_246:                              ; =>This Inner Loop Header: Depth=1
	s_wait_loadcnt 0x0
	flat_load_b32 v8, v[1:2]
	v_add_nc_u32_e32 v7, -1, v7
	v_add_co_u32 v1, vcc_lo, v1, 4
	s_wait_alu 0xfffd
	v_add_co_ci_u32_e64 v2, null, 0, v2, vcc_lo
	s_delay_alu instid0(VALU_DEP_3)
	v_cmp_eq_u32_e32 vcc_lo, 0, v7
	s_wait_alu 0xfffe
	s_or_b32 s2, vcc_lo, s2
	s_wait_loadcnt_dscnt 0x0
	v_or_b32_e32 v8, v8, v6
	flat_store_b32 v[3:4], v8
	v_add_co_u32 v3, s0, v3, 4
	s_wait_alu 0xf1ff
	v_add_co_ci_u32_e64 v4, null, 0, v4, s0
	s_wait_alu 0xfffe
	s_and_not1_b32 exec_lo, exec_lo, s2
	s_cbranch_execnz .LBB2_246
; %bb.247:
	s_or_b32 exec_lo, exec_lo, s2
	v_mov_b32_e32 v1, v68
.LBB2_248:
	s_wait_alu 0xfffe
	s_or_b32 exec_lo, exec_lo, s1
	s_mov_b32 s2, 0
	s_mov_b32 s1, exec_lo
	v_cmpx_lt_i32_e32 0, v65
	s_cbranch_execz .LBB2_252
; %bb.249:
	scratch_load_b64 v[3:4], off, s33 offset:72
	v_mov_b32_e32 v2, 0
	s_delay_alu instid0(VALU_DEP_1) | instskip(SKIP_2) | instid1(VALU_DEP_3)
	v_lshlrev_b64_e32 v[6:7], 2, v[1:2]
	v_lshlrev_b32_e64 v2, v5, 2
	v_add_nc_u32_e32 v1, v65, v1
	v_add_co_u32 v5, vcc_lo, v66, v6
	s_wait_alu 0xfffd
	s_delay_alu instid0(VALU_DEP_4)
	v_add_co_ci_u32_e64 v6, null, v67, v7, vcc_lo
.LBB2_250:                              ; =>This Inner Loop Header: Depth=1
	s_wait_loadcnt 0x0
	flat_load_b32 v7, v[3:4]
	v_add_nc_u32_e32 v65, -1, v65
	v_add_co_u32 v3, vcc_lo, v3, 4
	s_wait_alu 0xfffd
	v_add_co_ci_u32_e64 v4, null, 0, v4, vcc_lo
	s_delay_alu instid0(VALU_DEP_3)
	v_cmp_eq_u32_e32 vcc_lo, 0, v65
	s_wait_alu 0xfffe
	s_or_b32 s2, vcc_lo, s2
	s_wait_loadcnt_dscnt 0x0
	v_or_b32_e32 v7, v7, v2
	flat_store_b32 v[5:6], v7
	v_add_co_u32 v5, s0, v5, 4
	s_wait_alu 0xf1ff
	v_add_co_ci_u32_e64 v6, null, 0, v6, s0
	s_wait_alu 0xfffe
	s_and_not1_b32 exec_lo, exec_lo, s2
	s_cbranch_execnz .LBB2_250
; %bb.251:
	s_or_b32 exec_lo, exec_lo, s2
.LBB2_252:
	s_wait_alu 0xfffe
	s_or_b32 exec_lo, exec_lo, s1
	s_mov_b32 s2, 0
	s_mov_b32 s1, exec_lo
	v_cmpx_lt_i32_e32 0, v55
	s_cbranch_execz .LBB2_256
; %bb.253:
	scratch_load_b64 v[3:4], off, s33 offset:88
	v_mov_b32_e32 v2, 0
	s_delay_alu instid0(VALU_DEP_1) | instskip(SKIP_1) | instid1(VALU_DEP_2)
	v_lshlrev_b64_e32 v[5:6], 2, v[1:2]
	v_add_nc_u32_e32 v1, v1, v55
	v_add_co_u32 v5, vcc_lo, v66, v5
	s_wait_alu 0xfffd
	s_delay_alu instid0(VALU_DEP_3)
	v_add_co_ci_u32_e64 v6, null, v67, v6, vcc_lo
.LBB2_254:                              ; =>This Inner Loop Header: Depth=1
	s_wait_loadcnt 0x0
	flat_load_b32 v2, v[3:4]
	v_add_nc_u32_e32 v55, -1, v55
	v_add_co_u32 v3, vcc_lo, v3, 4
	s_wait_alu 0xfffd
	v_add_co_ci_u32_e64 v4, null, 0, v4, vcc_lo
	s_delay_alu instid0(VALU_DEP_3)
	v_cmp_eq_u32_e32 vcc_lo, 0, v55
	s_wait_alu 0xfffe
	s_or_b32 s2, vcc_lo, s2
	s_wait_loadcnt_dscnt 0x0
	flat_store_b32 v[5:6], v2
	v_add_co_u32 v5, s0, v5, 4
	s_wait_alu 0xf1ff
	v_add_co_ci_u32_e64 v6, null, 0, v6, s0
	s_wait_alu 0xfffe
	s_and_not1_b32 exec_lo, exec_lo, s2
	s_cbranch_execnz .LBB2_254
; %bb.255:
	s_or_b32 exec_lo, exec_lo, s2
.LBB2_256:
	s_wait_alu 0xfffe
	s_or_b32 exec_lo, exec_lo, s1
	flat_load_b32 v2, v[41:42] offset:4
	s_mov_b32 s0, s20
	s_mov_b32 s1, exec_lo
	s_wait_loadcnt_dscnt 0x0
	v_cmpx_ne_u32_e64 v1, v2
	s_wait_alu 0xfffe
	s_xor_b32 s19, exec_lo, s1
	s_cbranch_execz .LBB2_258
; %bb.257:
	s_getpc_b64 s[0:1]
	s_wait_alu 0xfffe
	s_sext_i32_i16 s1, s1
	s_add_co_u32 s0, s0, .str.23@rel32@lo+12
	s_wait_alu 0xfffe
	s_add_co_ci_u32 s1, s1, .str.23@rel32@hi+24
	s_getpc_b64 s[2:3]
	s_wait_alu 0xfffe
	s_sext_i32_i16 s3, s3
	s_add_co_u32 s2, s2, .str.16@rel32@lo+12
	s_wait_alu 0xfffe
	s_add_co_ci_u32 s3, s3, .str.16@rel32@hi+24
	s_getpc_b64 s[4:5]
	s_wait_alu 0xfffe
	s_sext_i32_i16 s5, s5
	s_add_co_u32 s4, s4, __PRETTY_FUNCTION__._ZN3sop14minatoIsop5RecEjjiPNS_3SopEP7VecsMemIjLi8192EE@rel32@lo+12
	s_wait_alu 0xfffe
	s_add_co_ci_u32 s5, s5, __PRETTY_FUNCTION__._ZN3sop14minatoIsop5RecEjjiPNS_3SopEP7VecsMemIjLi8192EE@rel32@hi+24
	v_dual_mov_b32 v0, s0 :: v_dual_mov_b32 v1, s1
	v_dual_mov_b32 v2, s2 :: v_dual_mov_b32 v3, s3
	;; [unrolled: 1-line block ×3, first 2 shown]
	s_wait_alu 0xfffe
	v_mov_b32_e32 v6, s5
	s_getpc_b64 s[6:7]
	s_wait_alu 0xfffe
	s_sext_i32_i16 s7, s7
	s_add_co_u32 s6, s6, __assert_fail@rel32@lo+12
	s_wait_alu 0xfffe
	s_add_co_ci_u32 s7, s7, __assert_fail@rel32@hi+24
	s_mov_b64 s[8:9], s[34:35]
	s_wait_alu 0xfffe
	s_swappc_b64 s[30:31], s[6:7]
	s_or_b32 s0, s20, exec_lo
                                        ; implicit-def: $vgpr43
                                        ; implicit-def: $vgpr46
                                        ; implicit-def: $vgpr47
                                        ; implicit-def: $vgpr0
.LBB2_258:
	s_wait_alu 0xfffe
	s_or_saveexec_b32 s1, s19
	s_mov_b32 s2, 0
                                        ; implicit-def: $vgpr64
                                        ; implicit-def: $vgpr54
	s_wait_alu 0xfffe
	s_xor_b32 exec_lo, exec_lo, s1
	s_cbranch_execz .LBB2_260
; %bb.259:
	v_mov_b32_e32 v44, 0
	s_getpc_b64 s[4:5]
	s_wait_alu 0xfffe
	s_sext_i32_i16 s5, s5
	s_add_co_u32 s4, s4, __const._ZN3sop14minatoIsop5RecEjjiPNS_3SopEP7VecsMemIjLi8192EE.uMasks@rel32@lo+12
	s_wait_alu 0xfffe
	s_add_co_ci_u32 s5, s5, __const._ZN3sop14minatoIsop5RecEjjiPNS_3SopEP7VecsMemIjLi8192EE.uMasks@rel32@hi+24
	s_mov_b32 s2, exec_lo
	v_lshlrev_b64_e32 v[1:2], 2, v[43:44]
	s_delay_alu instid0(VALU_DEP_1) | instskip(SKIP_1) | instid1(VALU_DEP_2)
	v_add_co_u32 v1, vcc_lo, s4, v1
	s_wait_alu 0xfffc
	v_add_co_ci_u32_e64 v2, null, s5, v2, vcc_lo
	global_load_b32 v1, v[1:2], off
	s_wait_loadcnt 0x0
	v_bfi_b32 v2, v1, 0, v46
	v_and_b32_e32 v1, v1, v47
	s_delay_alu instid0(VALU_DEP_1) | instskip(NEXT) | instid1(VALU_DEP_1)
	v_or3_b32 v64, v1, v0, v2
	v_mov_b32_e32 v54, v64
.LBB2_260:
	s_or_b32 exec_lo, exec_lo, s1
	s_delay_alu instid0(SALU_CYCLE_1)
	s_and_not1_b32 s1, s20, exec_lo
	s_and_b32 s0, s0, exec_lo
	s_and_b32 s19, s2, exec_lo
	s_wait_alu 0xfffe
	s_or_b32 s21, s1, s0
.LBB2_261:
	s_wait_alu 0xfffe
	s_and_not1_saveexec_b32 s17, s17
	s_cbranch_execz .LBB2_263
; %bb.262:
	s_getpc_b64 s[0:1]
	s_wait_alu 0xfffe
	s_sext_i32_i16 s1, s1
	s_add_co_u32 s0, s0, .str.20@rel32@lo+12
	s_wait_alu 0xfffe
	s_add_co_ci_u32 s1, s1, .str.20@rel32@hi+24
	s_getpc_b64 s[2:3]
	s_wait_alu 0xfffe
	s_sext_i32_i16 s3, s3
	s_add_co_u32 s2, s2, .str.16@rel32@lo+12
	s_wait_alu 0xfffe
	s_add_co_ci_u32 s3, s3, .str.16@rel32@hi+24
	s_getpc_b64 s[4:5]
	s_wait_alu 0xfffe
	s_sext_i32_i16 s5, s5
	s_add_co_u32 s4, s4, __PRETTY_FUNCTION__._ZN3sop14minatoIsop5RecEjjiPNS_3SopEP7VecsMemIjLi8192EE@rel32@lo+12
	s_wait_alu 0xfffe
	s_add_co_ci_u32 s5, s5, __PRETTY_FUNCTION__._ZN3sop14minatoIsop5RecEjjiPNS_3SopEP7VecsMemIjLi8192EE@rel32@hi+24
	v_dual_mov_b32 v0, s0 :: v_dual_mov_b32 v1, s1
	v_dual_mov_b32 v2, s2 :: v_dual_mov_b32 v3, s3
	;; [unrolled: 1-line block ×3, first 2 shown]
	s_wait_alu 0xfffe
	v_mov_b32_e32 v6, s5
	s_getpc_b64 s[6:7]
	s_wait_alu 0xfffe
	s_sext_i32_i16 s7, s7
	s_add_co_u32 s6, s6, __assert_fail@rel32@lo+12
	s_wait_alu 0xfffe
	s_add_co_ci_u32 s7, s7, __assert_fail@rel32@hi+24
	s_mov_b64 s[8:9], s[34:35]
	s_wait_alu 0xfffe
	s_swappc_b64 s[30:31], s[6:7]
	s_or_b32 s21, s21, exec_lo
.LBB2_263:
	s_wait_alu 0xfffe
	s_or_b32 exec_lo, exec_lo, s17
	s_delay_alu instid0(SALU_CYCLE_1)
	s_and_not1_b32 s0, s20, exec_lo
	s_and_b32 s1, s21, exec_lo
	s_and_b32 s17, s19, exec_lo
	s_wait_alu 0xfffe
	s_or_b32 s20, s0, s1
.LBB2_264:
	s_wait_alu 0xfffe
	s_or_b32 exec_lo, exec_lo, s18
	s_delay_alu instid0(SALU_CYCLE_1)
	s_and_not1_b32 s1, s48, exec_lo
	s_and_b32 s2, s20, exec_lo
	s_and_b32 s0, s17, exec_lo
	s_wait_alu 0xfffe
	s_or_b32 s48, s1, s2
.LBB2_265:
	s_wait_alu 0xfffe
	s_or_b32 exec_lo, exec_lo, s49
	s_delay_alu instid0(SALU_CYCLE_1)
	s_and_not1_b32 s1, s36, exec_lo
	s_and_b32 s2, s48, exec_lo
	s_and_b32 s18, s0, exec_lo
	s_wait_alu 0xfffe
	s_or_b32 s17, s1, s2
                                        ; implicit-def: $vgpr44_vgpr45
.LBB2_266:
	s_wait_alu 0xfffe
	s_and_not1_saveexec_b32 s19, s39
	s_cbranch_execz .LBB2_405
; %bb.267:
	v_dual_mov_b32 v0, 0 :: v_dual_mov_b32 v1, 1
	s_mov_b32 s20, s18
	s_mov_b32 s0, exec_lo
	flat_store_b64 v[41:42], v[0:1]
	flat_load_b32 v1, v[44:45]
	s_wait_loadcnt_dscnt 0x0
	v_cmpx_gt_i32_e32 0x2000, v1
	s_wait_alu 0xfffe
	s_xor_b32 s0, exec_lo, s0
	s_cbranch_execz .LBB2_269
; %bb.268:
	v_ashrrev_i32_e32 v2, 31, v1
	s_or_b32 s20, s18, exec_lo
	s_delay_alu instid0(VALU_DEP_1) | instskip(SKIP_1) | instid1(VALU_DEP_2)
	v_lshlrev_b64_e32 v[2:3], 2, v[1:2]
	v_add_nc_u32_e32 v1, 1, v1
	v_add_co_u32 v2, vcc_lo, v44, v2
	s_wait_alu 0xfffd
	s_delay_alu instid0(VALU_DEP_3) | instskip(NEXT) | instid1(VALU_DEP_2)
	v_add_co_ci_u32_e64 v3, null, v45, v3, vcc_lo
	v_add_co_u32 v4, vcc_lo, v2, 4
	s_wait_alu 0xfffd
	s_delay_alu instid0(VALU_DEP_2)
	v_add_co_ci_u32_e64 v5, null, 0, v3, vcc_lo
	flat_store_b32 v[44:45], v1
	flat_store_b64 v[41:42], v[4:5] offset:8
	flat_store_b32 v[2:3], v0 offset:4
.LBB2_269:
	s_wait_alu 0xfffe
	s_or_saveexec_b32 s21, s0
	s_mov_b32 s0, s17
	s_wait_alu 0xfffe
	s_xor_b32 exec_lo, exec_lo, s21
	s_cbranch_execz .LBB2_404
; %bb.270:
	s_load_b64 s[2:3], s[34:35], 0x50
	v_mbcnt_lo_u32_b32 v31, -1, 0
	v_mov_b32_e32 v6, 0
	v_mov_b32_e32 v7, 0
	s_delay_alu instid0(VALU_DEP_3) | instskip(SKIP_1) | instid1(VALU_DEP_1)
	v_readfirstlane_b32 s0, v31
	s_wait_alu 0xf1ff
	v_cmp_eq_u32_e64 s0, s0, v31
	s_and_saveexec_b32 s1, s0
	s_cbranch_execz .LBB2_276
; %bb.271:
	v_mov_b32_e32 v0, 0
	s_mov_b32 s4, exec_lo
	s_wait_kmcnt 0x0
	global_load_b64 v[3:4], v0, s[2:3] offset:24 scope:SCOPE_SYS
	s_wait_loadcnt 0x0
	global_inv scope:SCOPE_SYS
	s_clause 0x1
	global_load_b64 v[1:2], v0, s[2:3] offset:40
	global_load_b64 v[5:6], v0, s[2:3]
	s_wait_loadcnt 0x1
	v_and_b32_e32 v2, v2, v4
	v_and_b32_e32 v1, v1, v3
	s_delay_alu instid0(VALU_DEP_2) | instskip(NEXT) | instid1(VALU_DEP_2)
	v_mul_lo_u32 v2, 24, v2
	v_mul_lo_u32 v7, 0, v1
	v_mul_hi_u32 v8, 24, v1
	v_mul_lo_u32 v1, 24, v1
	s_delay_alu instid0(VALU_DEP_3) | instskip(SKIP_1) | instid1(VALU_DEP_2)
	v_add_nc_u32_e32 v2, v2, v7
	s_wait_loadcnt 0x0
	v_add_co_u32 v1, vcc_lo, v5, v1
	s_delay_alu instid0(VALU_DEP_2) | instskip(SKIP_1) | instid1(VALU_DEP_1)
	v_add_nc_u32_e32 v2, v2, v8
	s_wait_alu 0xfffd
	v_add_co_ci_u32_e64 v2, null, v6, v2, vcc_lo
	global_load_b64 v[1:2], v[1:2], off scope:SCOPE_SYS
	s_wait_loadcnt 0x0
	global_atomic_cmpswap_b64 v[6:7], v0, v[1:4], s[2:3] offset:24 th:TH_ATOMIC_RETURN scope:SCOPE_SYS
	s_wait_loadcnt 0x0
	global_inv scope:SCOPE_SYS
	v_cmpx_ne_u64_e64 v[6:7], v[3:4]
	s_cbranch_execz .LBB2_275
; %bb.272:
	s_mov_b32 s5, 0
.LBB2_273:                              ; =>This Inner Loop Header: Depth=1
	s_sleep 1
	s_clause 0x1
	global_load_b64 v[1:2], v0, s[2:3] offset:40
	global_load_b64 v[8:9], v0, s[2:3]
	v_dual_mov_b32 v3, v6 :: v_dual_mov_b32 v4, v7
	s_wait_loadcnt 0x1
	s_delay_alu instid0(VALU_DEP_1) | instskip(NEXT) | instid1(VALU_DEP_2)
	v_and_b32_e32 v1, v1, v3
	v_and_b32_e32 v2, v2, v4
	s_wait_loadcnt 0x0
	s_delay_alu instid0(VALU_DEP_2) | instskip(NEXT) | instid1(VALU_DEP_1)
	v_mad_co_u64_u32 v[5:6], null, v1, 24, v[8:9]
	v_mov_b32_e32 v1, v6
	s_delay_alu instid0(VALU_DEP_1) | instskip(NEXT) | instid1(VALU_DEP_1)
	v_mad_co_u64_u32 v[1:2], null, v2, 24, v[1:2]
	v_mov_b32_e32 v6, v1
	global_load_b64 v[1:2], v[5:6], off scope:SCOPE_SYS
	s_wait_loadcnt 0x0
	global_atomic_cmpswap_b64 v[6:7], v0, v[1:4], s[2:3] offset:24 th:TH_ATOMIC_RETURN scope:SCOPE_SYS
	s_wait_loadcnt 0x0
	global_inv scope:SCOPE_SYS
	v_cmp_eq_u64_e32 vcc_lo, v[6:7], v[3:4]
	s_wait_alu 0xfffe
	s_or_b32 s5, vcc_lo, s5
	s_wait_alu 0xfffe
	s_and_not1_b32 exec_lo, exec_lo, s5
	s_cbranch_execnz .LBB2_273
; %bb.274:
	s_or_b32 exec_lo, exec_lo, s5
.LBB2_275:
	s_wait_alu 0xfffe
	s_or_b32 exec_lo, exec_lo, s4
.LBB2_276:
	s_wait_alu 0xfffe
	s_or_b32 exec_lo, exec_lo, s1
	v_readfirstlane_b32 s4, v6
	v_mov_b32_e32 v5, 0
	v_readfirstlane_b32 s5, v7
	s_mov_b32 s1, exec_lo
	s_wait_kmcnt 0x0
	s_clause 0x1
	global_load_b64 v[8:9], v5, s[2:3] offset:40
	global_load_b128 v[0:3], v5, s[2:3]
	s_wait_loadcnt 0x1
	s_wait_alu 0xf1ff
	v_and_b32_e32 v11, s5, v9
	v_and_b32_e32 v10, s4, v8
	s_delay_alu instid0(VALU_DEP_2) | instskip(NEXT) | instid1(VALU_DEP_2)
	v_mul_lo_u32 v4, 24, v11
	v_mul_lo_u32 v6, 0, v10
	v_mul_hi_u32 v7, 24, v10
	v_mul_lo_u32 v8, 24, v10
	s_delay_alu instid0(VALU_DEP_3) | instskip(SKIP_1) | instid1(VALU_DEP_2)
	v_add_nc_u32_e32 v4, v4, v6
	s_wait_loadcnt 0x0
	v_add_co_u32 v8, vcc_lo, v0, v8
	s_delay_alu instid0(VALU_DEP_2) | instskip(SKIP_1) | instid1(VALU_DEP_1)
	v_add_nc_u32_e32 v4, v4, v7
	s_wait_alu 0xfffd
	v_add_co_ci_u32_e64 v9, null, v1, v4, vcc_lo
	s_and_saveexec_b32 s6, s0
	s_cbranch_execz .LBB2_278
; %bb.277:
	s_wait_alu 0xfffe
	v_dual_mov_b32 v4, s1 :: v_dual_mov_b32 v7, 1
	v_mov_b32_e32 v6, 2
	global_store_b128 v[8:9], v[4:7], off offset:8
.LBB2_278:
	s_wait_alu 0xfffe
	s_or_b32 exec_lo, exec_lo, s6
	v_lshlrev_b64_e32 v[10:11], 12, v[10:11]
	v_dual_mov_b32 v7, v5 :: v_dual_lshlrev_b32 v30, 6, v31
	s_mov_b32 s8, 0
	s_wait_alu 0xfffe
	s_mov_b32 s11, s8
	s_delay_alu instid0(VALU_DEP_2)
	v_add_co_u32 v2, vcc_lo, v2, v10
	s_wait_alu 0xfffd
	v_add_co_ci_u32_e64 v3, null, v3, v11, vcc_lo
	s_mov_b32 s9, s8
	v_add_co_u32 v10, vcc_lo, v2, v30
	s_mov_b32 s10, s8
	s_wait_alu 0xfffe
	v_dual_mov_b32 v4, 33 :: v_dual_mov_b32 v15, s11
	v_dual_mov_b32 v6, v5 :: v_dual_mov_b32 v13, s9
	v_readfirstlane_b32 s6, v2
	v_readfirstlane_b32 s7, v3
	s_wait_alu 0xfffd
	v_add_co_ci_u32_e64 v11, null, 0, v3, vcc_lo
	v_mov_b32_e32 v14, s10
	v_mov_b32_e32 v12, s8
	s_clause 0x3
	global_store_b128 v30, v[4:7], s[6:7]
	global_store_b128 v30, v[12:15], s[6:7] offset:16
	global_store_b128 v30, v[12:15], s[6:7] offset:32
	global_store_b128 v30, v[12:15], s[6:7] offset:48
	s_and_saveexec_b32 s1, s0
	s_cbranch_execz .LBB2_286
; %bb.279:
	v_mov_b32_e32 v6, 0
	s_mov_b32 s6, exec_lo
	s_clause 0x1
	global_load_b64 v[14:15], v6, s[2:3] offset:32 scope:SCOPE_SYS
	global_load_b64 v[2:3], v6, s[2:3] offset:40
	v_dual_mov_b32 v13, s5 :: v_dual_mov_b32 v12, s4
	s_wait_loadcnt 0x0
	v_and_b32_e32 v3, s5, v3
	v_and_b32_e32 v2, s4, v2
	s_delay_alu instid0(VALU_DEP_2) | instskip(NEXT) | instid1(VALU_DEP_2)
	v_mul_lo_u32 v3, 24, v3
	v_mul_lo_u32 v4, 0, v2
	v_mul_hi_u32 v5, 24, v2
	v_mul_lo_u32 v2, 24, v2
	s_delay_alu instid0(VALU_DEP_3) | instskip(NEXT) | instid1(VALU_DEP_2)
	v_add_nc_u32_e32 v3, v3, v4
	v_add_co_u32 v4, vcc_lo, v0, v2
	s_delay_alu instid0(VALU_DEP_2) | instskip(SKIP_1) | instid1(VALU_DEP_1)
	v_add_nc_u32_e32 v3, v3, v5
	s_wait_alu 0xfffd
	v_add_co_ci_u32_e64 v5, null, v1, v3, vcc_lo
	global_store_b64 v[4:5], v[14:15], off
	global_wb scope:SCOPE_SYS
	s_wait_storecnt 0x0
	global_atomic_cmpswap_b64 v[2:3], v6, v[12:15], s[2:3] offset:32 th:TH_ATOMIC_RETURN scope:SCOPE_SYS
	s_wait_loadcnt 0x0
	v_cmpx_ne_u64_e64 v[2:3], v[14:15]
	s_cbranch_execz .LBB2_282
; %bb.280:
	s_mov_b32 s7, 0
.LBB2_281:                              ; =>This Inner Loop Header: Depth=1
	v_dual_mov_b32 v0, s4 :: v_dual_mov_b32 v1, s5
	s_sleep 1
	global_store_b64 v[4:5], v[2:3], off
	global_wb scope:SCOPE_SYS
	s_wait_storecnt 0x0
	global_atomic_cmpswap_b64 v[0:1], v6, v[0:3], s[2:3] offset:32 th:TH_ATOMIC_RETURN scope:SCOPE_SYS
	s_wait_loadcnt 0x0
	v_cmp_eq_u64_e32 vcc_lo, v[0:1], v[2:3]
	v_dual_mov_b32 v3, v1 :: v_dual_mov_b32 v2, v0
	s_wait_alu 0xfffe
	s_or_b32 s7, vcc_lo, s7
	s_wait_alu 0xfffe
	s_and_not1_b32 exec_lo, exec_lo, s7
	s_cbranch_execnz .LBB2_281
.LBB2_282:
	s_wait_alu 0xfffe
	s_or_b32 exec_lo, exec_lo, s6
	v_mov_b32_e32 v3, 0
	s_mov_b32 s7, exec_lo
	s_mov_b32 s6, exec_lo
	s_wait_alu 0xfffe
	v_mbcnt_lo_u32_b32 v2, s7, 0
	global_load_b64 v[0:1], v3, s[2:3] offset:16
	v_cmpx_eq_u32_e32 0, v2
	s_cbranch_execz .LBB2_284
; %bb.283:
	s_bcnt1_i32_b32 s7, s7
	s_wait_alu 0xfffe
	v_mov_b32_e32 v2, s7
	global_wb scope:SCOPE_SYS
	s_wait_loadcnt 0x0
	s_wait_storecnt 0x0
	global_atomic_add_u64 v[0:1], v[2:3], off offset:8 scope:SCOPE_SYS
.LBB2_284:
	s_or_b32 exec_lo, exec_lo, s6
	s_wait_loadcnt 0x0
	global_load_b64 v[2:3], v[0:1], off offset:16
	s_wait_loadcnt 0x0
	v_cmp_eq_u64_e32 vcc_lo, 0, v[2:3]
	s_cbranch_vccnz .LBB2_286
; %bb.285:
	global_load_b32 v0, v[0:1], off offset:24
	v_mov_b32_e32 v1, 0
	s_wait_loadcnt 0x0
	v_readfirstlane_b32 s6, v0
	global_wb scope:SCOPE_SYS
	s_wait_storecnt 0x0
	global_store_b64 v[2:3], v[0:1], off scope:SCOPE_SYS
	s_and_b32 m0, s6, 0xffffff
	s_sendmsg sendmsg(MSG_INTERRUPT)
.LBB2_286:
	s_wait_alu 0xfffe
	s_or_b32 exec_lo, exec_lo, s1
	s_branch .LBB2_288
.LBB2_287:
	s_branch .LBB2_292
.LBB2_288:                              ; =>This Inner Loop Header: Depth=1
	v_mov_b32_e32 v0, 1
	s_and_saveexec_b32 s1, s0
	s_cbranch_execz .LBB2_290
; %bb.289:                              ;   in Loop: Header=BB2_288 Depth=1
	global_load_b32 v0, v[8:9], off offset:20 scope:SCOPE_SYS
	s_wait_loadcnt 0x0
	global_inv scope:SCOPE_SYS
	v_and_b32_e32 v0, 1, v0
.LBB2_290:                              ;   in Loop: Header=BB2_288 Depth=1
	s_wait_alu 0xfffe
	s_or_b32 exec_lo, exec_lo, s1
	s_delay_alu instid0(VALU_DEP_1)
	v_readfirstlane_b32 s1, v0
	s_cmp_eq_u32 s1, 0
	s_cbranch_scc1 .LBB2_287
; %bb.291:                              ;   in Loop: Header=BB2_288 Depth=1
	s_sleep 1
	s_cbranch_execnz .LBB2_288
.LBB2_292:
	global_load_b64 v[0:1], v[10:11], off
	s_and_saveexec_b32 s6, s0
	s_cbranch_execz .LBB2_296
; %bb.293:
	v_mov_b32_e32 v8, 0
	s_clause 0x2
	global_load_b64 v[2:3], v8, s[2:3] offset:40
	global_load_b64 v[11:12], v8, s[2:3] offset:24 scope:SCOPE_SYS
	global_load_b64 v[4:5], v8, s[2:3]
	s_wait_loadcnt 0x2
	v_readfirstlane_b32 s8, v2
	v_readfirstlane_b32 s9, v3
	s_add_nc_u64 s[0:1], s[8:9], 1
	s_wait_alu 0xfffe
	s_add_nc_u64 s[4:5], s[0:1], s[4:5]
	s_wait_alu 0xfffe
	s_cmp_eq_u64 s[4:5], 0
	s_cselect_b32 s1, s1, s5
	s_cselect_b32 s0, s0, s4
	s_wait_alu 0xfffe
	v_mov_b32_e32 v10, s1
	s_and_b64 s[4:5], s[0:1], s[8:9]
	v_mov_b32_e32 v9, s0
	s_wait_alu 0xfffe
	s_mul_u64 s[4:5], s[4:5], 24
	s_wait_loadcnt 0x0
	s_wait_alu 0xfffe
	v_add_co_u32 v6, vcc_lo, v4, s4
	s_wait_alu 0xfffd
	v_add_co_ci_u32_e64 v7, null, s5, v5, vcc_lo
	global_store_b64 v[6:7], v[11:12], off
	global_wb scope:SCOPE_SYS
	s_wait_storecnt 0x0
	global_atomic_cmpswap_b64 v[4:5], v8, v[9:12], s[2:3] offset:24 th:TH_ATOMIC_RETURN scope:SCOPE_SYS
	s_wait_loadcnt 0x0
	v_cmp_ne_u64_e32 vcc_lo, v[4:5], v[11:12]
	s_and_b32 exec_lo, exec_lo, vcc_lo
	s_cbranch_execz .LBB2_296
; %bb.294:
	s_mov_b32 s4, 0
.LBB2_295:                              ; =>This Inner Loop Header: Depth=1
	v_dual_mov_b32 v2, s0 :: v_dual_mov_b32 v3, s1
	s_sleep 1
	global_store_b64 v[6:7], v[4:5], off
	global_wb scope:SCOPE_SYS
	s_wait_storecnt 0x0
	global_atomic_cmpswap_b64 v[2:3], v8, v[2:5], s[2:3] offset:24 th:TH_ATOMIC_RETURN scope:SCOPE_SYS
	s_wait_loadcnt 0x0
	v_cmp_eq_u64_e32 vcc_lo, v[2:3], v[4:5]
	v_dual_mov_b32 v5, v3 :: v_dual_mov_b32 v4, v2
	s_wait_alu 0xfffe
	s_or_b32 s4, vcc_lo, s4
	s_wait_alu 0xfffe
	s_and_not1_b32 exec_lo, exec_lo, s4
	s_cbranch_execnz .LBB2_295
.LBB2_296:
	s_wait_alu 0xfffe
	s_or_b32 exec_lo, exec_lo, s6
	s_getpc_b64 s[4:5]
	s_wait_alu 0xfffe
	s_sext_i32_i16 s5, s5
	s_add_co_u32 s4, s4, .str.28@rel32@lo+12
	s_wait_alu 0xfffe
	s_add_co_ci_u32 s5, s5, .str.28@rel32@hi+24
	s_wait_alu 0xfffe
	s_cmp_lg_u64 s[4:5], 0
	s_cbranch_scc0 .LBB2_375
; %bb.297:
	s_wait_loadcnt 0x0
	v_dual_mov_b32 v7, v1 :: v_dual_and_b32 v6, -3, v0
	v_dual_mov_b32 v3, 0 :: v_dual_mov_b32 v4, 2
	v_mov_b32_e32 v5, 1
	s_mov_b64 s[6:7], 35
	s_branch .LBB2_299
.LBB2_298:                              ;   in Loop: Header=BB2_299 Depth=1
	s_wait_alu 0xfffe
	s_or_b32 exec_lo, exec_lo, s12
	s_sub_nc_u64 s[6:7], s[6:7], s[8:9]
	s_add_nc_u64 s[4:5], s[4:5], s[8:9]
	s_wait_alu 0xfffe
	s_cmp_lg_u64 s[6:7], 0
	s_cbranch_scc0 .LBB2_374
.LBB2_299:                              ; =>This Loop Header: Depth=1
                                        ;     Child Loop BB2_302 Depth 2
                                        ;     Child Loop BB2_309 Depth 2
	;; [unrolled: 1-line block ×11, first 2 shown]
	s_wait_alu 0xfffe
	v_cmp_lt_u64_e64 s0, s[6:7], 56
	v_cmp_gt_u64_e64 s1, s[6:7], 7
	s_and_b32 s0, s0, exec_lo
	s_cselect_b32 s9, s7, 0
	s_cselect_b32 s8, s6, 56
	s_and_b32 vcc_lo, exec_lo, s1
	s_wait_alu 0xfffe
	s_cbranch_vccnz .LBB2_304
; %bb.300:                              ;   in Loop: Header=BB2_299 Depth=1
	s_wait_loadcnt 0x0
	v_mov_b32_e32 v8, 0
	v_mov_b32_e32 v9, 0
	s_cmp_eq_u64 s[6:7], 0
	s_cbranch_scc1 .LBB2_303
; %bb.301:                              ;   in Loop: Header=BB2_299 Depth=1
	s_mov_b64 s[0:1], 0
	s_mov_b64 s[10:11], 0
.LBB2_302:                              ;   Parent Loop BB2_299 Depth=1
                                        ; =>  This Inner Loop Header: Depth=2
	s_wait_alu 0xfffe
	s_add_nc_u64 s[12:13], s[4:5], s[10:11]
	s_add_nc_u64 s[10:11], s[10:11], 1
	global_load_u8 v2, v3, s[12:13]
	s_wait_alu 0xfffe
	s_cmp_lg_u32 s8, s10
	s_wait_loadcnt 0x0
	v_and_b32_e32 v2, 0xffff, v2
	s_delay_alu instid0(VALU_DEP_1) | instskip(SKIP_1) | instid1(VALU_DEP_1)
	v_lshlrev_b64_e32 v[10:11], s0, v[2:3]
	s_add_nc_u64 s[0:1], s[0:1], 8
	v_or_b32_e32 v8, v10, v8
	s_delay_alu instid0(VALU_DEP_2)
	v_or_b32_e32 v9, v11, v9
	s_cbranch_scc1 .LBB2_302
.LBB2_303:                              ;   in Loop: Header=BB2_299 Depth=1
	s_mov_b64 s[10:11], s[4:5]
	s_mov_b32 s14, 0
	s_cbranch_execz .LBB2_305
	s_branch .LBB2_306
.LBB2_304:                              ;   in Loop: Header=BB2_299 Depth=1
	s_add_nc_u64 s[10:11], s[4:5], 8
	s_mov_b32 s14, 0
.LBB2_305:                              ;   in Loop: Header=BB2_299 Depth=1
	s_wait_loadcnt 0x0
	global_load_b64 v[8:9], v3, s[4:5]
	s_add_co_i32 s14, s8, -8
.LBB2_306:                              ;   in Loop: Header=BB2_299 Depth=1
	s_wait_alu 0xfffe
	s_cmp_gt_u32 s14, 7
	s_cbranch_scc1 .LBB2_311
; %bb.307:                              ;   in Loop: Header=BB2_299 Depth=1
	v_mov_b32_e32 v10, 0
	v_mov_b32_e32 v11, 0
	s_cmp_eq_u32 s14, 0
	s_cbranch_scc1 .LBB2_310
; %bb.308:                              ;   in Loop: Header=BB2_299 Depth=1
	s_mov_b64 s[0:1], 0
	s_mov_b64 s[12:13], 0
.LBB2_309:                              ;   Parent Loop BB2_299 Depth=1
                                        ; =>  This Inner Loop Header: Depth=2
	s_wait_alu 0xfffe
	s_add_nc_u64 s[22:23], s[10:11], s[12:13]
	s_add_nc_u64 s[12:13], s[12:13], 1
	global_load_u8 v2, v3, s[22:23]
	s_wait_alu 0xfffe
	s_cmp_lg_u32 s14, s12
	s_wait_loadcnt 0x0
	v_and_b32_e32 v2, 0xffff, v2
	s_delay_alu instid0(VALU_DEP_1) | instskip(SKIP_1) | instid1(VALU_DEP_1)
	v_lshlrev_b64_e32 v[12:13], s0, v[2:3]
	s_add_nc_u64 s[0:1], s[0:1], 8
	v_or_b32_e32 v10, v12, v10
	s_delay_alu instid0(VALU_DEP_2)
	v_or_b32_e32 v11, v13, v11
	s_cbranch_scc1 .LBB2_309
.LBB2_310:                              ;   in Loop: Header=BB2_299 Depth=1
	s_mov_b64 s[0:1], s[10:11]
	s_mov_b32 s15, 0
	s_cbranch_execz .LBB2_312
	s_branch .LBB2_313
.LBB2_311:                              ;   in Loop: Header=BB2_299 Depth=1
	s_add_nc_u64 s[0:1], s[10:11], 8
                                        ; implicit-def: $vgpr10_vgpr11
	s_mov_b32 s15, 0
.LBB2_312:                              ;   in Loop: Header=BB2_299 Depth=1
	global_load_b64 v[10:11], v3, s[10:11]
	s_add_co_i32 s15, s14, -8
.LBB2_313:                              ;   in Loop: Header=BB2_299 Depth=1
	s_wait_alu 0xfffe
	s_cmp_gt_u32 s15, 7
	s_cbranch_scc1 .LBB2_318
; %bb.314:                              ;   in Loop: Header=BB2_299 Depth=1
	v_mov_b32_e32 v12, 0
	v_mov_b32_e32 v13, 0
	s_cmp_eq_u32 s15, 0
	s_cbranch_scc1 .LBB2_317
; %bb.315:                              ;   in Loop: Header=BB2_299 Depth=1
	s_mov_b64 s[10:11], 0
	s_mov_b64 s[12:13], 0
.LBB2_316:                              ;   Parent Loop BB2_299 Depth=1
                                        ; =>  This Inner Loop Header: Depth=2
	s_wait_alu 0xfffe
	s_add_nc_u64 s[22:23], s[0:1], s[12:13]
	s_add_nc_u64 s[12:13], s[12:13], 1
	global_load_u8 v2, v3, s[22:23]
	s_wait_alu 0xfffe
	s_cmp_lg_u32 s15, s12
	s_wait_loadcnt 0x0
	v_and_b32_e32 v2, 0xffff, v2
	s_delay_alu instid0(VALU_DEP_1) | instskip(SKIP_1) | instid1(VALU_DEP_1)
	v_lshlrev_b64_e32 v[14:15], s10, v[2:3]
	s_add_nc_u64 s[10:11], s[10:11], 8
	v_or_b32_e32 v12, v14, v12
	s_delay_alu instid0(VALU_DEP_2)
	v_or_b32_e32 v13, v15, v13
	s_cbranch_scc1 .LBB2_316
.LBB2_317:                              ;   in Loop: Header=BB2_299 Depth=1
	s_mov_b64 s[10:11], s[0:1]
	s_mov_b32 s14, 0
	s_cbranch_execz .LBB2_319
	s_branch .LBB2_320
.LBB2_318:                              ;   in Loop: Header=BB2_299 Depth=1
	s_add_nc_u64 s[10:11], s[0:1], 8
	s_mov_b32 s14, 0
.LBB2_319:                              ;   in Loop: Header=BB2_299 Depth=1
	global_load_b64 v[12:13], v3, s[0:1]
	s_add_co_i32 s14, s15, -8
.LBB2_320:                              ;   in Loop: Header=BB2_299 Depth=1
	s_wait_alu 0xfffe
	s_cmp_gt_u32 s14, 7
	s_cbranch_scc1 .LBB2_325
; %bb.321:                              ;   in Loop: Header=BB2_299 Depth=1
	v_mov_b32_e32 v14, 0
	v_mov_b32_e32 v15, 0
	s_cmp_eq_u32 s14, 0
	s_cbranch_scc1 .LBB2_324
; %bb.322:                              ;   in Loop: Header=BB2_299 Depth=1
	s_mov_b64 s[0:1], 0
	s_mov_b64 s[12:13], 0
.LBB2_323:                              ;   Parent Loop BB2_299 Depth=1
                                        ; =>  This Inner Loop Header: Depth=2
	s_wait_alu 0xfffe
	s_add_nc_u64 s[22:23], s[10:11], s[12:13]
	s_add_nc_u64 s[12:13], s[12:13], 1
	global_load_u8 v2, v3, s[22:23]
	s_wait_alu 0xfffe
	s_cmp_lg_u32 s14, s12
	s_wait_loadcnt 0x0
	v_and_b32_e32 v2, 0xffff, v2
	s_delay_alu instid0(VALU_DEP_1) | instskip(SKIP_1) | instid1(VALU_DEP_1)
	v_lshlrev_b64_e32 v[16:17], s0, v[2:3]
	s_add_nc_u64 s[0:1], s[0:1], 8
	v_or_b32_e32 v14, v16, v14
	s_delay_alu instid0(VALU_DEP_2)
	v_or_b32_e32 v15, v17, v15
	s_cbranch_scc1 .LBB2_323
.LBB2_324:                              ;   in Loop: Header=BB2_299 Depth=1
	s_mov_b64 s[0:1], s[10:11]
	s_mov_b32 s15, 0
	s_cbranch_execz .LBB2_326
	s_branch .LBB2_327
.LBB2_325:                              ;   in Loop: Header=BB2_299 Depth=1
	s_add_nc_u64 s[0:1], s[10:11], 8
                                        ; implicit-def: $vgpr14_vgpr15
	s_mov_b32 s15, 0
.LBB2_326:                              ;   in Loop: Header=BB2_299 Depth=1
	global_load_b64 v[14:15], v3, s[10:11]
	s_add_co_i32 s15, s14, -8
.LBB2_327:                              ;   in Loop: Header=BB2_299 Depth=1
	s_wait_alu 0xfffe
	s_cmp_gt_u32 s15, 7
	s_cbranch_scc1 .LBB2_332
; %bb.328:                              ;   in Loop: Header=BB2_299 Depth=1
	v_mov_b32_e32 v16, 0
	v_mov_b32_e32 v17, 0
	s_cmp_eq_u32 s15, 0
	s_cbranch_scc1 .LBB2_331
; %bb.329:                              ;   in Loop: Header=BB2_299 Depth=1
	s_mov_b64 s[10:11], 0
	s_mov_b64 s[12:13], 0
.LBB2_330:                              ;   Parent Loop BB2_299 Depth=1
                                        ; =>  This Inner Loop Header: Depth=2
	s_wait_alu 0xfffe
	s_add_nc_u64 s[22:23], s[0:1], s[12:13]
	s_add_nc_u64 s[12:13], s[12:13], 1
	global_load_u8 v2, v3, s[22:23]
	s_wait_alu 0xfffe
	s_cmp_lg_u32 s15, s12
	s_wait_loadcnt 0x0
	v_and_b32_e32 v2, 0xffff, v2
	s_delay_alu instid0(VALU_DEP_1) | instskip(SKIP_1) | instid1(VALU_DEP_1)
	v_lshlrev_b64_e32 v[18:19], s10, v[2:3]
	s_add_nc_u64 s[10:11], s[10:11], 8
	v_or_b32_e32 v16, v18, v16
	s_delay_alu instid0(VALU_DEP_2)
	v_or_b32_e32 v17, v19, v17
	s_cbranch_scc1 .LBB2_330
.LBB2_331:                              ;   in Loop: Header=BB2_299 Depth=1
	s_mov_b64 s[10:11], s[0:1]
	s_mov_b32 s14, 0
	s_cbranch_execz .LBB2_333
	s_branch .LBB2_334
.LBB2_332:                              ;   in Loop: Header=BB2_299 Depth=1
	s_add_nc_u64 s[10:11], s[0:1], 8
	s_mov_b32 s14, 0
.LBB2_333:                              ;   in Loop: Header=BB2_299 Depth=1
	global_load_b64 v[16:17], v3, s[0:1]
	s_add_co_i32 s14, s15, -8
.LBB2_334:                              ;   in Loop: Header=BB2_299 Depth=1
	s_wait_alu 0xfffe
	s_cmp_gt_u32 s14, 7
	s_cbranch_scc1 .LBB2_339
; %bb.335:                              ;   in Loop: Header=BB2_299 Depth=1
	v_mov_b32_e32 v18, 0
	v_mov_b32_e32 v19, 0
	s_cmp_eq_u32 s14, 0
	s_cbranch_scc1 .LBB2_338
; %bb.336:                              ;   in Loop: Header=BB2_299 Depth=1
	s_mov_b64 s[0:1], 0
	s_mov_b64 s[12:13], 0
.LBB2_337:                              ;   Parent Loop BB2_299 Depth=1
                                        ; =>  This Inner Loop Header: Depth=2
	s_wait_alu 0xfffe
	s_add_nc_u64 s[22:23], s[10:11], s[12:13]
	s_add_nc_u64 s[12:13], s[12:13], 1
	global_load_u8 v2, v3, s[22:23]
	s_wait_alu 0xfffe
	s_cmp_lg_u32 s14, s12
	s_wait_loadcnt 0x0
	v_and_b32_e32 v2, 0xffff, v2
	s_delay_alu instid0(VALU_DEP_1) | instskip(SKIP_1) | instid1(VALU_DEP_1)
	v_lshlrev_b64_e32 v[20:21], s0, v[2:3]
	s_add_nc_u64 s[0:1], s[0:1], 8
	v_or_b32_e32 v18, v20, v18
	s_delay_alu instid0(VALU_DEP_2)
	v_or_b32_e32 v19, v21, v19
	s_cbranch_scc1 .LBB2_337
.LBB2_338:                              ;   in Loop: Header=BB2_299 Depth=1
	s_mov_b64 s[0:1], s[10:11]
	s_mov_b32 s15, 0
	s_cbranch_execz .LBB2_340
	s_branch .LBB2_341
.LBB2_339:                              ;   in Loop: Header=BB2_299 Depth=1
	s_add_nc_u64 s[0:1], s[10:11], 8
                                        ; implicit-def: $vgpr18_vgpr19
	s_mov_b32 s15, 0
.LBB2_340:                              ;   in Loop: Header=BB2_299 Depth=1
	global_load_b64 v[18:19], v3, s[10:11]
	s_add_co_i32 s15, s14, -8
.LBB2_341:                              ;   in Loop: Header=BB2_299 Depth=1
	s_wait_alu 0xfffe
	s_cmp_gt_u32 s15, 7
	s_cbranch_scc1 .LBB2_346
; %bb.342:                              ;   in Loop: Header=BB2_299 Depth=1
	v_mov_b32_e32 v20, 0
	v_mov_b32_e32 v21, 0
	s_cmp_eq_u32 s15, 0
	s_cbranch_scc1 .LBB2_345
; %bb.343:                              ;   in Loop: Header=BB2_299 Depth=1
	s_mov_b64 s[10:11], 0
	s_mov_b64 s[12:13], s[0:1]
.LBB2_344:                              ;   Parent Loop BB2_299 Depth=1
                                        ; =>  This Inner Loop Header: Depth=2
	global_load_u8 v2, v3, s[12:13]
	s_add_co_i32 s15, s15, -1
	s_wait_alu 0xfffe
	s_add_nc_u64 s[12:13], s[12:13], 1
	s_cmp_lg_u32 s15, 0
	s_wait_loadcnt 0x0
	v_and_b32_e32 v2, 0xffff, v2
	s_delay_alu instid0(VALU_DEP_1) | instskip(SKIP_1) | instid1(VALU_DEP_1)
	v_lshlrev_b64_e32 v[22:23], s10, v[2:3]
	s_add_nc_u64 s[10:11], s[10:11], 8
	v_or_b32_e32 v20, v22, v20
	s_delay_alu instid0(VALU_DEP_2)
	v_or_b32_e32 v21, v23, v21
	s_cbranch_scc1 .LBB2_344
.LBB2_345:                              ;   in Loop: Header=BB2_299 Depth=1
	s_cbranch_execz .LBB2_347
	s_branch .LBB2_348
.LBB2_346:                              ;   in Loop: Header=BB2_299 Depth=1
.LBB2_347:                              ;   in Loop: Header=BB2_299 Depth=1
	global_load_b64 v[20:21], v3, s[0:1]
.LBB2_348:                              ;   in Loop: Header=BB2_299 Depth=1
	v_readfirstlane_b32 s0, v31
	v_mov_b32_e32 v26, 0
	v_mov_b32_e32 v27, 0
	s_wait_alu 0xf1ff
	s_delay_alu instid0(VALU_DEP_3)
	v_cmp_eq_u32_e64 s0, s0, v31
	s_and_saveexec_b32 s1, s0
	s_cbranch_execz .LBB2_354
; %bb.349:                              ;   in Loop: Header=BB2_299 Depth=1
	global_load_b64 v[24:25], v3, s[2:3] offset:24 scope:SCOPE_SYS
	s_wait_loadcnt 0x0
	global_inv scope:SCOPE_SYS
	s_clause 0x1
	global_load_b64 v[22:23], v3, s[2:3] offset:40
	global_load_b64 v[26:27], v3, s[2:3]
	s_mov_b32 s10, exec_lo
	s_wait_loadcnt 0x1
	v_and_b32_e32 v2, v23, v25
	v_and_b32_e32 v22, v22, v24
	s_delay_alu instid0(VALU_DEP_2) | instskip(NEXT) | instid1(VALU_DEP_2)
	v_mul_lo_u32 v2, 24, v2
	v_mul_lo_u32 v23, 0, v22
	v_mul_hi_u32 v28, 24, v22
	v_mul_lo_u32 v22, 24, v22
	s_delay_alu instid0(VALU_DEP_3) | instskip(SKIP_1) | instid1(VALU_DEP_2)
	v_add_nc_u32_e32 v2, v2, v23
	s_wait_loadcnt 0x0
	v_add_co_u32 v22, vcc_lo, v26, v22
	s_delay_alu instid0(VALU_DEP_2) | instskip(SKIP_1) | instid1(VALU_DEP_1)
	v_add_nc_u32_e32 v2, v2, v28
	s_wait_alu 0xfffd
	v_add_co_ci_u32_e64 v23, null, v27, v2, vcc_lo
	global_load_b64 v[22:23], v[22:23], off scope:SCOPE_SYS
	s_wait_loadcnt 0x0
	global_atomic_cmpswap_b64 v[26:27], v3, v[22:25], s[2:3] offset:24 th:TH_ATOMIC_RETURN scope:SCOPE_SYS
	s_wait_loadcnt 0x0
	global_inv scope:SCOPE_SYS
	v_cmpx_ne_u64_e64 v[26:27], v[24:25]
	s_cbranch_execz .LBB2_353
; %bb.350:                              ;   in Loop: Header=BB2_299 Depth=1
	s_mov_b32 s11, 0
.LBB2_351:                              ;   Parent Loop BB2_299 Depth=1
                                        ; =>  This Inner Loop Header: Depth=2
	s_sleep 1
	s_clause 0x1
	global_load_b64 v[22:23], v3, s[2:3] offset:40
	global_load_b64 v[28:29], v3, s[2:3]
	v_dual_mov_b32 v24, v26 :: v_dual_mov_b32 v25, v27
	s_wait_loadcnt 0x1
	s_delay_alu instid0(VALU_DEP_1) | instskip(NEXT) | instid1(VALU_DEP_2)
	v_and_b32_e32 v2, v22, v24
	v_and_b32_e32 v22, v23, v25
	s_wait_loadcnt 0x0
	s_delay_alu instid0(VALU_DEP_2) | instskip(NEXT) | instid1(VALU_DEP_1)
	v_mad_co_u64_u32 v[26:27], null, v2, 24, v[28:29]
	v_mov_b32_e32 v2, v27
	s_delay_alu instid0(VALU_DEP_1) | instskip(NEXT) | instid1(VALU_DEP_1)
	v_mad_co_u64_u32 v[22:23], null, v22, 24, v[2:3]
	v_mov_b32_e32 v27, v22
	global_load_b64 v[22:23], v[26:27], off scope:SCOPE_SYS
	s_wait_loadcnt 0x0
	global_atomic_cmpswap_b64 v[26:27], v3, v[22:25], s[2:3] offset:24 th:TH_ATOMIC_RETURN scope:SCOPE_SYS
	s_wait_loadcnt 0x0
	global_inv scope:SCOPE_SYS
	v_cmp_eq_u64_e32 vcc_lo, v[26:27], v[24:25]
	s_wait_alu 0xfffe
	s_or_b32 s11, vcc_lo, s11
	s_wait_alu 0xfffe
	s_and_not1_b32 exec_lo, exec_lo, s11
	s_cbranch_execnz .LBB2_351
; %bb.352:                              ;   in Loop: Header=BB2_299 Depth=1
	s_or_b32 exec_lo, exec_lo, s11
.LBB2_353:                              ;   in Loop: Header=BB2_299 Depth=1
	s_wait_alu 0xfffe
	s_or_b32 exec_lo, exec_lo, s10
.LBB2_354:                              ;   in Loop: Header=BB2_299 Depth=1
	s_wait_alu 0xfffe
	s_or_b32 exec_lo, exec_lo, s1
	s_clause 0x1
	global_load_b64 v[28:29], v3, s[2:3] offset:40
	global_load_b128 v[22:25], v3, s[2:3]
	v_readfirstlane_b32 s11, v27
	v_readfirstlane_b32 s10, v26
	s_mov_b32 s1, exec_lo
	s_wait_loadcnt 0x1
	s_wait_alu 0xf1ff
	v_and_b32_e32 v29, s11, v29
	v_and_b32_e32 v28, s10, v28
	s_delay_alu instid0(VALU_DEP_2) | instskip(NEXT) | instid1(VALU_DEP_2)
	v_mul_lo_u32 v2, 24, v29
	v_mul_lo_u32 v26, 0, v28
	v_mul_hi_u32 v27, 24, v28
	v_mul_lo_u32 v32, 24, v28
	s_delay_alu instid0(VALU_DEP_3) | instskip(SKIP_1) | instid1(VALU_DEP_2)
	v_add_nc_u32_e32 v2, v2, v26
	s_wait_loadcnt 0x0
	v_add_co_u32 v26, vcc_lo, v22, v32
	s_delay_alu instid0(VALU_DEP_2) | instskip(SKIP_1) | instid1(VALU_DEP_1)
	v_add_nc_u32_e32 v2, v2, v27
	s_wait_alu 0xfffd
	v_add_co_ci_u32_e64 v27, null, v23, v2, vcc_lo
	s_and_saveexec_b32 s12, s0
	s_cbranch_execz .LBB2_356
; %bb.355:                              ;   in Loop: Header=BB2_299 Depth=1
	s_wait_alu 0xfffe
	v_mov_b32_e32 v2, s1
	global_store_b128 v[26:27], v[2:5], off offset:8
.LBB2_356:                              ;   in Loop: Header=BB2_299 Depth=1
	s_wait_alu 0xfffe
	s_or_b32 exec_lo, exec_lo, s12
	v_cmp_gt_u64_e64 s1, s[6:7], 56
	v_lshlrev_b64_e32 v[28:29], 12, v[28:29]
	v_and_b32_e32 v2, 0xffffff1f, v6
	s_and_b32 s1, s1, exec_lo
	s_delay_alu instid0(VALU_DEP_2)
	v_add_co_u32 v24, vcc_lo, v24, v28
	s_cselect_b32 s1, 0, 2
	s_wait_alu 0xfffd
	v_add_co_ci_u32_e64 v25, null, v25, v29, vcc_lo
	s_wait_alu 0xfffe
	v_or_b32_e32 v2, s1, v2
	s_lshl_b32 s12, s8, 2
	s_wait_alu 0xfffe
	s_add_co_i32 s1, s12, 28
	v_readfirstlane_b32 s12, v24
	v_readfirstlane_b32 s13, v25
	s_wait_alu 0xfffe
	v_and_or_b32 v6, 0x1e0, s1, v2
	s_clause 0x3
	global_store_b128 v30, v[6:9], s[12:13]
	global_store_b128 v30, v[10:13], s[12:13] offset:16
	global_store_b128 v30, v[14:17], s[12:13] offset:32
	;; [unrolled: 1-line block ×3, first 2 shown]
	s_and_saveexec_b32 s1, s0
	s_cbranch_execz .LBB2_364
; %bb.357:                              ;   in Loop: Header=BB2_299 Depth=1
	s_clause 0x1
	global_load_b64 v[14:15], v3, s[2:3] offset:32 scope:SCOPE_SYS
	global_load_b64 v[6:7], v3, s[2:3] offset:40
	v_mov_b32_e32 v12, s10
	s_mov_b32 s12, exec_lo
	s_wait_loadcnt 0x0
	v_dual_mov_b32 v13, s11 :: v_dual_and_b32 v2, s11, v7
	v_and_b32_e32 v6, s10, v6
	s_delay_alu instid0(VALU_DEP_2) | instskip(NEXT) | instid1(VALU_DEP_2)
	v_mul_lo_u32 v2, 24, v2
	v_mul_lo_u32 v7, 0, v6
	v_mul_hi_u32 v8, 24, v6
	v_mul_lo_u32 v6, 24, v6
	s_delay_alu instid0(VALU_DEP_3) | instskip(NEXT) | instid1(VALU_DEP_2)
	v_add_nc_u32_e32 v2, v2, v7
	v_add_co_u32 v10, vcc_lo, v22, v6
	s_delay_alu instid0(VALU_DEP_2) | instskip(SKIP_1) | instid1(VALU_DEP_1)
	v_add_nc_u32_e32 v2, v2, v8
	s_wait_alu 0xfffd
	v_add_co_ci_u32_e64 v11, null, v23, v2, vcc_lo
	global_store_b64 v[10:11], v[14:15], off
	global_wb scope:SCOPE_SYS
	s_wait_storecnt 0x0
	global_atomic_cmpswap_b64 v[8:9], v3, v[12:15], s[2:3] offset:32 th:TH_ATOMIC_RETURN scope:SCOPE_SYS
	s_wait_loadcnt 0x0
	v_cmpx_ne_u64_e64 v[8:9], v[14:15]
	s_cbranch_execz .LBB2_360
; %bb.358:                              ;   in Loop: Header=BB2_299 Depth=1
	s_mov_b32 s13, 0
.LBB2_359:                              ;   Parent Loop BB2_299 Depth=1
                                        ; =>  This Inner Loop Header: Depth=2
	v_dual_mov_b32 v6, s10 :: v_dual_mov_b32 v7, s11
	s_sleep 1
	global_store_b64 v[10:11], v[8:9], off
	global_wb scope:SCOPE_SYS
	s_wait_storecnt 0x0
	global_atomic_cmpswap_b64 v[6:7], v3, v[6:9], s[2:3] offset:32 th:TH_ATOMIC_RETURN scope:SCOPE_SYS
	s_wait_loadcnt 0x0
	v_cmp_eq_u64_e32 vcc_lo, v[6:7], v[8:9]
	v_dual_mov_b32 v9, v7 :: v_dual_mov_b32 v8, v6
	s_wait_alu 0xfffe
	s_or_b32 s13, vcc_lo, s13
	s_wait_alu 0xfffe
	s_and_not1_b32 exec_lo, exec_lo, s13
	s_cbranch_execnz .LBB2_359
.LBB2_360:                              ;   in Loop: Header=BB2_299 Depth=1
	s_wait_alu 0xfffe
	s_or_b32 exec_lo, exec_lo, s12
	global_load_b64 v[6:7], v3, s[2:3] offset:16
	s_mov_b32 s13, exec_lo
	s_mov_b32 s12, exec_lo
	s_wait_alu 0xfffe
	v_mbcnt_lo_u32_b32 v2, s13, 0
	s_delay_alu instid0(VALU_DEP_1)
	v_cmpx_eq_u32_e32 0, v2
	s_cbranch_execz .LBB2_362
; %bb.361:                              ;   in Loop: Header=BB2_299 Depth=1
	s_bcnt1_i32_b32 s13, s13
	s_wait_alu 0xfffe
	v_mov_b32_e32 v2, s13
	global_wb scope:SCOPE_SYS
	s_wait_loadcnt 0x0
	s_wait_storecnt 0x0
	global_atomic_add_u64 v[6:7], v[2:3], off offset:8 scope:SCOPE_SYS
.LBB2_362:                              ;   in Loop: Header=BB2_299 Depth=1
	s_or_b32 exec_lo, exec_lo, s12
	s_wait_loadcnt 0x0
	global_load_b64 v[8:9], v[6:7], off offset:16
	s_wait_loadcnt 0x0
	v_cmp_eq_u64_e32 vcc_lo, 0, v[8:9]
	s_cbranch_vccnz .LBB2_364
; %bb.363:                              ;   in Loop: Header=BB2_299 Depth=1
	global_load_b32 v2, v[6:7], off offset:24
	s_wait_loadcnt 0x0
	v_readfirstlane_b32 s12, v2
	global_wb scope:SCOPE_SYS
	s_wait_storecnt 0x0
	global_store_b64 v[8:9], v[2:3], off scope:SCOPE_SYS
	s_and_b32 m0, s12, 0xffffff
	s_sendmsg sendmsg(MSG_INTERRUPT)
.LBB2_364:                              ;   in Loop: Header=BB2_299 Depth=1
	s_wait_alu 0xfffe
	s_or_b32 exec_lo, exec_lo, s1
	v_add_co_u32 v6, vcc_lo, v24, v30
	s_wait_alu 0xfffd
	v_add_co_ci_u32_e64 v7, null, 0, v25, vcc_lo
	s_branch .LBB2_366
.LBB2_365:                              ;   in Loop: Header=BB2_299 Depth=1
	s_branch .LBB2_370
.LBB2_366:                              ;   Parent Loop BB2_299 Depth=1
                                        ; =>  This Inner Loop Header: Depth=2
	v_mov_b32_e32 v2, 1
	s_and_saveexec_b32 s1, s0
	s_cbranch_execz .LBB2_368
; %bb.367:                              ;   in Loop: Header=BB2_366 Depth=2
	global_load_b32 v2, v[26:27], off offset:20 scope:SCOPE_SYS
	s_wait_loadcnt 0x0
	global_inv scope:SCOPE_SYS
	v_and_b32_e32 v2, 1, v2
.LBB2_368:                              ;   in Loop: Header=BB2_366 Depth=2
	s_wait_alu 0xfffe
	s_or_b32 exec_lo, exec_lo, s1
	s_delay_alu instid0(VALU_DEP_1)
	v_readfirstlane_b32 s1, v2
	s_cmp_eq_u32 s1, 0
	s_cbranch_scc1 .LBB2_365
; %bb.369:                              ;   in Loop: Header=BB2_366 Depth=2
	s_sleep 1
	s_cbranch_execnz .LBB2_366
.LBB2_370:                              ;   in Loop: Header=BB2_299 Depth=1
	global_load_b128 v[6:9], v[6:7], off
	s_and_saveexec_b32 s12, s0
	s_cbranch_execz .LBB2_298
; %bb.371:                              ;   in Loop: Header=BB2_299 Depth=1
	s_wait_loadcnt 0x0
	s_clause 0x2
	global_load_b64 v[8:9], v3, s[2:3] offset:40
	global_load_b64 v[16:17], v3, s[2:3] offset:24 scope:SCOPE_SYS
	global_load_b64 v[10:11], v3, s[2:3]
	s_wait_loadcnt 0x2
	v_readfirstlane_b32 s14, v8
	v_readfirstlane_b32 s15, v9
	s_add_nc_u64 s[0:1], s[14:15], 1
	s_wait_alu 0xfffe
	s_add_nc_u64 s[10:11], s[0:1], s[10:11]
	s_wait_alu 0xfffe
	s_cmp_eq_u64 s[10:11], 0
	s_cselect_b32 s1, s1, s11
	s_cselect_b32 s0, s0, s10
	s_wait_alu 0xfffe
	v_dual_mov_b32 v15, s1 :: v_dual_mov_b32 v14, s0
	s_and_b64 s[10:11], s[0:1], s[14:15]
	s_wait_alu 0xfffe
	s_mul_u64 s[10:11], s[10:11], 24
	s_wait_loadcnt 0x0
	s_wait_alu 0xfffe
	v_add_co_u32 v12, vcc_lo, v10, s10
	s_wait_alu 0xfffd
	v_add_co_ci_u32_e64 v13, null, s11, v11, vcc_lo
	global_store_b64 v[12:13], v[16:17], off
	global_wb scope:SCOPE_SYS
	s_wait_storecnt 0x0
	global_atomic_cmpswap_b64 v[10:11], v3, v[14:17], s[2:3] offset:24 th:TH_ATOMIC_RETURN scope:SCOPE_SYS
	s_wait_loadcnt 0x0
	v_cmp_ne_u64_e32 vcc_lo, v[10:11], v[16:17]
	s_and_b32 exec_lo, exec_lo, vcc_lo
	s_cbranch_execz .LBB2_298
; %bb.372:                              ;   in Loop: Header=BB2_299 Depth=1
	s_mov_b32 s10, 0
.LBB2_373:                              ;   Parent Loop BB2_299 Depth=1
                                        ; =>  This Inner Loop Header: Depth=2
	v_dual_mov_b32 v8, s0 :: v_dual_mov_b32 v9, s1
	s_sleep 1
	global_store_b64 v[12:13], v[10:11], off
	global_wb scope:SCOPE_SYS
	s_wait_storecnt 0x0
	global_atomic_cmpswap_b64 v[8:9], v3, v[8:11], s[2:3] offset:24 th:TH_ATOMIC_RETURN scope:SCOPE_SYS
	s_wait_loadcnt 0x0
	v_cmp_eq_u64_e32 vcc_lo, v[8:9], v[10:11]
	v_dual_mov_b32 v11, v9 :: v_dual_mov_b32 v10, v8
	s_wait_alu 0xfffe
	s_or_b32 s10, vcc_lo, s10
	s_wait_alu 0xfffe
	s_and_not1_b32 exec_lo, exec_lo, s10
	s_cbranch_execnz .LBB2_373
	s_branch .LBB2_298
.LBB2_374:
	s_branch .LBB2_403
.LBB2_375:
	s_cbranch_execz .LBB2_403
; %bb.376:
	v_readfirstlane_b32 s0, v31
	s_wait_loadcnt 0x0
	v_mov_b32_e32 v8, 0
	v_mov_b32_e32 v9, 0
	s_wait_alu 0xf1ff
	v_cmp_eq_u32_e64 s0, s0, v31
	s_and_saveexec_b32 s1, s0
	s_cbranch_execz .LBB2_382
; %bb.377:
	v_mov_b32_e32 v2, 0
	s_mov_b32 s4, exec_lo
	global_load_b64 v[5:6], v2, s[2:3] offset:24 scope:SCOPE_SYS
	s_wait_loadcnt 0x0
	global_inv scope:SCOPE_SYS
	s_clause 0x1
	global_load_b64 v[3:4], v2, s[2:3] offset:40
	global_load_b64 v[7:8], v2, s[2:3]
	s_wait_loadcnt 0x1
	v_and_b32_e32 v4, v4, v6
	v_and_b32_e32 v3, v3, v5
	s_delay_alu instid0(VALU_DEP_2) | instskip(NEXT) | instid1(VALU_DEP_2)
	v_mul_lo_u32 v4, 24, v4
	v_mul_lo_u32 v9, 0, v3
	v_mul_hi_u32 v10, 24, v3
	v_mul_lo_u32 v3, 24, v3
	s_delay_alu instid0(VALU_DEP_3) | instskip(SKIP_1) | instid1(VALU_DEP_2)
	v_add_nc_u32_e32 v4, v4, v9
	s_wait_loadcnt 0x0
	v_add_co_u32 v3, vcc_lo, v7, v3
	s_delay_alu instid0(VALU_DEP_2) | instskip(SKIP_1) | instid1(VALU_DEP_1)
	v_add_nc_u32_e32 v4, v4, v10
	s_wait_alu 0xfffd
	v_add_co_ci_u32_e64 v4, null, v8, v4, vcc_lo
	global_load_b64 v[3:4], v[3:4], off scope:SCOPE_SYS
	s_wait_loadcnt 0x0
	global_atomic_cmpswap_b64 v[8:9], v2, v[3:6], s[2:3] offset:24 th:TH_ATOMIC_RETURN scope:SCOPE_SYS
	s_wait_loadcnt 0x0
	global_inv scope:SCOPE_SYS
	v_cmpx_ne_u64_e64 v[8:9], v[5:6]
	s_cbranch_execz .LBB2_381
; %bb.378:
	s_mov_b32 s5, 0
.LBB2_379:                              ; =>This Inner Loop Header: Depth=1
	s_sleep 1
	s_clause 0x1
	global_load_b64 v[3:4], v2, s[2:3] offset:40
	global_load_b64 v[10:11], v2, s[2:3]
	v_dual_mov_b32 v5, v8 :: v_dual_mov_b32 v6, v9
	s_wait_loadcnt 0x1
	s_delay_alu instid0(VALU_DEP_1) | instskip(NEXT) | instid1(VALU_DEP_2)
	v_and_b32_e32 v3, v3, v5
	v_and_b32_e32 v4, v4, v6
	s_wait_loadcnt 0x0
	s_delay_alu instid0(VALU_DEP_2) | instskip(NEXT) | instid1(VALU_DEP_1)
	v_mad_co_u64_u32 v[7:8], null, v3, 24, v[10:11]
	v_mov_b32_e32 v3, v8
	s_delay_alu instid0(VALU_DEP_1) | instskip(NEXT) | instid1(VALU_DEP_1)
	v_mad_co_u64_u32 v[3:4], null, v4, 24, v[3:4]
	v_mov_b32_e32 v8, v3
	global_load_b64 v[3:4], v[7:8], off scope:SCOPE_SYS
	s_wait_loadcnt 0x0
	global_atomic_cmpswap_b64 v[8:9], v2, v[3:6], s[2:3] offset:24 th:TH_ATOMIC_RETURN scope:SCOPE_SYS
	s_wait_loadcnt 0x0
	global_inv scope:SCOPE_SYS
	v_cmp_eq_u64_e32 vcc_lo, v[8:9], v[5:6]
	s_wait_alu 0xfffe
	s_or_b32 s5, vcc_lo, s5
	s_wait_alu 0xfffe
	s_and_not1_b32 exec_lo, exec_lo, s5
	s_cbranch_execnz .LBB2_379
; %bb.380:
	s_or_b32 exec_lo, exec_lo, s5
.LBB2_381:
	s_wait_alu 0xfffe
	s_or_b32 exec_lo, exec_lo, s4
.LBB2_382:
	s_wait_alu 0xfffe
	s_or_b32 exec_lo, exec_lo, s1
	v_readfirstlane_b32 s5, v9
	v_mov_b32_e32 v2, 0
	v_readfirstlane_b32 s4, v8
	s_mov_b32 s1, exec_lo
	s_clause 0x1
	global_load_b64 v[10:11], v2, s[2:3] offset:40
	global_load_b128 v[4:7], v2, s[2:3]
	s_wait_loadcnt 0x1
	s_wait_alu 0xf1ff
	v_and_b32_e32 v11, s5, v11
	v_and_b32_e32 v10, s4, v10
	s_delay_alu instid0(VALU_DEP_2) | instskip(NEXT) | instid1(VALU_DEP_2)
	v_mul_lo_u32 v3, 24, v11
	v_mul_lo_u32 v8, 0, v10
	v_mul_hi_u32 v9, 24, v10
	v_mul_lo_u32 v12, 24, v10
	s_delay_alu instid0(VALU_DEP_3) | instskip(SKIP_1) | instid1(VALU_DEP_2)
	v_add_nc_u32_e32 v3, v3, v8
	s_wait_loadcnt 0x0
	v_add_co_u32 v8, vcc_lo, v4, v12
	s_delay_alu instid0(VALU_DEP_2) | instskip(SKIP_1) | instid1(VALU_DEP_1)
	v_add_nc_u32_e32 v3, v3, v9
	s_wait_alu 0xfffd
	v_add_co_ci_u32_e64 v9, null, v5, v3, vcc_lo
	s_and_saveexec_b32 s6, s0
	s_cbranch_execz .LBB2_384
; %bb.383:
	s_wait_alu 0xfffe
	v_dual_mov_b32 v12, s1 :: v_dual_mov_b32 v13, v2
	v_dual_mov_b32 v14, 2 :: v_dual_mov_b32 v15, 1
	global_store_b128 v[8:9], v[12:15], off offset:8
.LBB2_384:
	s_wait_alu 0xfffe
	s_or_b32 exec_lo, exec_lo, s6
	v_lshlrev_b64_e32 v[10:11], 12, v[10:11]
	s_mov_b32 s8, 0
	v_and_or_b32 v0, 0xffffff1d, v0, 34
	s_wait_alu 0xfffe
	s_mov_b32 s11, s8
	s_mov_b32 s9, s8
	;; [unrolled: 1-line block ×3, first 2 shown]
	v_add_co_u32 v6, vcc_lo, v6, v10
	s_wait_alu 0xfffd
	v_add_co_ci_u32_e64 v7, null, v7, v11, vcc_lo
	v_mov_b32_e32 v3, v2
	s_delay_alu instid0(VALU_DEP_3)
	v_readfirstlane_b32 s6, v6
	s_wait_alu 0xfffe
	v_dual_mov_b32 v13, s11 :: v_dual_mov_b32 v10, s8
	v_readfirstlane_b32 s7, v7
	v_dual_mov_b32 v12, s10 :: v_dual_mov_b32 v11, s9
	s_clause 0x3
	global_store_b128 v30, v[0:3], s[6:7]
	global_store_b128 v30, v[10:13], s[6:7] offset:16
	global_store_b128 v30, v[10:13], s[6:7] offset:32
	;; [unrolled: 1-line block ×3, first 2 shown]
	s_and_saveexec_b32 s1, s0
	s_cbranch_execz .LBB2_392
; %bb.385:
	v_mov_b32_e32 v6, 0
	s_mov_b32 s6, exec_lo
	s_clause 0x1
	global_load_b64 v[12:13], v6, s[2:3] offset:32 scope:SCOPE_SYS
	global_load_b64 v[0:1], v6, s[2:3] offset:40
	v_dual_mov_b32 v11, s5 :: v_dual_mov_b32 v10, s4
	s_wait_loadcnt 0x0
	v_and_b32_e32 v1, s5, v1
	v_and_b32_e32 v0, s4, v0
	s_delay_alu instid0(VALU_DEP_2) | instskip(NEXT) | instid1(VALU_DEP_2)
	v_mul_lo_u32 v1, 24, v1
	v_mul_lo_u32 v2, 0, v0
	v_mul_hi_u32 v3, 24, v0
	v_mul_lo_u32 v0, 24, v0
	s_delay_alu instid0(VALU_DEP_3) | instskip(NEXT) | instid1(VALU_DEP_2)
	v_add_nc_u32_e32 v1, v1, v2
	v_add_co_u32 v4, vcc_lo, v4, v0
	s_delay_alu instid0(VALU_DEP_2) | instskip(SKIP_1) | instid1(VALU_DEP_1)
	v_add_nc_u32_e32 v1, v1, v3
	s_wait_alu 0xfffd
	v_add_co_ci_u32_e64 v5, null, v5, v1, vcc_lo
	global_store_b64 v[4:5], v[12:13], off
	global_wb scope:SCOPE_SYS
	s_wait_storecnt 0x0
	global_atomic_cmpswap_b64 v[2:3], v6, v[10:13], s[2:3] offset:32 th:TH_ATOMIC_RETURN scope:SCOPE_SYS
	s_wait_loadcnt 0x0
	v_cmpx_ne_u64_e64 v[2:3], v[12:13]
	s_cbranch_execz .LBB2_388
; %bb.386:
	s_mov_b32 s7, 0
.LBB2_387:                              ; =>This Inner Loop Header: Depth=1
	v_dual_mov_b32 v0, s4 :: v_dual_mov_b32 v1, s5
	s_sleep 1
	global_store_b64 v[4:5], v[2:3], off
	global_wb scope:SCOPE_SYS
	s_wait_storecnt 0x0
	global_atomic_cmpswap_b64 v[0:1], v6, v[0:3], s[2:3] offset:32 th:TH_ATOMIC_RETURN scope:SCOPE_SYS
	s_wait_loadcnt 0x0
	v_cmp_eq_u64_e32 vcc_lo, v[0:1], v[2:3]
	v_dual_mov_b32 v3, v1 :: v_dual_mov_b32 v2, v0
	s_wait_alu 0xfffe
	s_or_b32 s7, vcc_lo, s7
	s_wait_alu 0xfffe
	s_and_not1_b32 exec_lo, exec_lo, s7
	s_cbranch_execnz .LBB2_387
.LBB2_388:
	s_wait_alu 0xfffe
	s_or_b32 exec_lo, exec_lo, s6
	v_mov_b32_e32 v3, 0
	s_mov_b32 s7, exec_lo
	s_mov_b32 s6, exec_lo
	s_wait_alu 0xfffe
	v_mbcnt_lo_u32_b32 v2, s7, 0
	global_load_b64 v[0:1], v3, s[2:3] offset:16
	v_cmpx_eq_u32_e32 0, v2
	s_cbranch_execz .LBB2_390
; %bb.389:
	s_bcnt1_i32_b32 s7, s7
	s_wait_alu 0xfffe
	v_mov_b32_e32 v2, s7
	global_wb scope:SCOPE_SYS
	s_wait_loadcnt 0x0
	s_wait_storecnt 0x0
	global_atomic_add_u64 v[0:1], v[2:3], off offset:8 scope:SCOPE_SYS
.LBB2_390:
	s_or_b32 exec_lo, exec_lo, s6
	s_wait_loadcnt 0x0
	global_load_b64 v[2:3], v[0:1], off offset:16
	s_wait_loadcnt 0x0
	v_cmp_eq_u64_e32 vcc_lo, 0, v[2:3]
	s_cbranch_vccnz .LBB2_392
; %bb.391:
	global_load_b32 v0, v[0:1], off offset:24
	v_mov_b32_e32 v1, 0
	s_wait_loadcnt 0x0
	v_readfirstlane_b32 s6, v0
	global_wb scope:SCOPE_SYS
	s_wait_storecnt 0x0
	global_store_b64 v[2:3], v[0:1], off scope:SCOPE_SYS
	s_and_b32 m0, s6, 0xffffff
	s_sendmsg sendmsg(MSG_INTERRUPT)
.LBB2_392:
	s_wait_alu 0xfffe
	s_or_b32 exec_lo, exec_lo, s1
	s_branch .LBB2_394
.LBB2_393:
	s_branch .LBB2_398
.LBB2_394:                              ; =>This Inner Loop Header: Depth=1
	v_mov_b32_e32 v0, 1
	s_and_saveexec_b32 s1, s0
	s_cbranch_execz .LBB2_396
; %bb.395:                              ;   in Loop: Header=BB2_394 Depth=1
	global_load_b32 v0, v[8:9], off offset:20 scope:SCOPE_SYS
	s_wait_loadcnt 0x0
	global_inv scope:SCOPE_SYS
	v_and_b32_e32 v0, 1, v0
.LBB2_396:                              ;   in Loop: Header=BB2_394 Depth=1
	s_wait_alu 0xfffe
	s_or_b32 exec_lo, exec_lo, s1
	s_delay_alu instid0(VALU_DEP_1)
	v_readfirstlane_b32 s1, v0
	s_cmp_eq_u32 s1, 0
	s_cbranch_scc1 .LBB2_393
; %bb.397:                              ;   in Loop: Header=BB2_394 Depth=1
	s_sleep 1
	s_cbranch_execnz .LBB2_394
.LBB2_398:
	s_and_saveexec_b32 s6, s0
	s_cbranch_execz .LBB2_402
; %bb.399:
	v_mov_b32_e32 v6, 0
	s_clause 0x2
	global_load_b64 v[0:1], v6, s[2:3] offset:40
	global_load_b64 v[9:10], v6, s[2:3] offset:24 scope:SCOPE_SYS
	global_load_b64 v[2:3], v6, s[2:3]
	s_wait_loadcnt 0x2
	v_readfirstlane_b32 s8, v0
	v_readfirstlane_b32 s9, v1
	s_add_nc_u64 s[0:1], s[8:9], 1
	s_wait_alu 0xfffe
	s_add_nc_u64 s[4:5], s[0:1], s[4:5]
	s_wait_alu 0xfffe
	s_cmp_eq_u64 s[4:5], 0
	s_cselect_b32 s1, s1, s5
	s_cselect_b32 s0, s0, s4
	s_wait_alu 0xfffe
	v_mov_b32_e32 v8, s1
	s_and_b64 s[4:5], s[0:1], s[8:9]
	v_mov_b32_e32 v7, s0
	s_wait_alu 0xfffe
	s_mul_u64 s[4:5], s[4:5], 24
	s_wait_loadcnt 0x0
	s_wait_alu 0xfffe
	v_add_co_u32 v4, vcc_lo, v2, s4
	s_wait_alu 0xfffd
	v_add_co_ci_u32_e64 v5, null, s5, v3, vcc_lo
	global_store_b64 v[4:5], v[9:10], off
	global_wb scope:SCOPE_SYS
	s_wait_storecnt 0x0
	global_atomic_cmpswap_b64 v[2:3], v6, v[7:10], s[2:3] offset:24 th:TH_ATOMIC_RETURN scope:SCOPE_SYS
	s_wait_loadcnt 0x0
	v_cmp_ne_u64_e32 vcc_lo, v[2:3], v[9:10]
	s_and_b32 exec_lo, exec_lo, vcc_lo
	s_cbranch_execz .LBB2_402
; %bb.400:
	s_mov_b32 s4, 0
.LBB2_401:                              ; =>This Inner Loop Header: Depth=1
	v_dual_mov_b32 v0, s0 :: v_dual_mov_b32 v1, s1
	s_sleep 1
	global_store_b64 v[4:5], v[2:3], off
	global_wb scope:SCOPE_SYS
	s_wait_storecnt 0x0
	global_atomic_cmpswap_b64 v[0:1], v6, v[0:3], s[2:3] offset:24 th:TH_ATOMIC_RETURN scope:SCOPE_SYS
	s_wait_loadcnt 0x0
	v_cmp_eq_u64_e32 vcc_lo, v[0:1], v[2:3]
	v_dual_mov_b32 v3, v1 :: v_dual_mov_b32 v2, v0
	s_wait_alu 0xfffe
	s_or_b32 s4, vcc_lo, s4
	s_wait_alu 0xfffe
	s_and_not1_b32 exec_lo, exec_lo, s4
	s_cbranch_execnz .LBB2_401
.LBB2_402:
	s_wait_alu 0xfffe
	s_or_b32 exec_lo, exec_lo, s6
.LBB2_403:
	s_getpc_b64 s[0:1]
	s_wait_alu 0xfffe
	s_sext_i32_i16 s1, s1
	s_add_co_u32 s0, s0, .str.29@rel32@lo+12
	s_wait_alu 0xfffe
	s_add_co_ci_u32 s1, s1, .str.29@rel32@hi+24
	s_getpc_b64 s[2:3]
	s_wait_alu 0xfffe
	s_sext_i32_i16 s3, s3
	s_add_co_u32 s2, s2, .str.19@rel32@lo+12
	s_wait_alu 0xfffe
	s_add_co_ci_u32 s3, s3, .str.19@rel32@hi+24
	s_getpc_b64 s[4:5]
	s_wait_alu 0xfffe
	s_sext_i32_i16 s5, s5
	s_add_co_u32 s4, s4, __PRETTY_FUNCTION__._ZN7VecsMemIjLi8192EE5fetchEi@rel32@lo+12
	s_wait_alu 0xfffe
	s_add_co_ci_u32 s5, s5, __PRETTY_FUNCTION__._ZN7VecsMemIjLi8192EE5fetchEi@rel32@hi+24
	s_wait_loadcnt 0x0
	v_dual_mov_b32 v0, s0 :: v_dual_mov_b32 v1, s1
	v_dual_mov_b32 v2, s2 :: v_dual_mov_b32 v3, s3
	;; [unrolled: 1-line block ×3, first 2 shown]
	s_wait_alu 0xfffe
	v_mov_b32_e32 v6, s5
	s_getpc_b64 s[6:7]
	s_wait_alu 0xfffe
	s_sext_i32_i16 s7, s7
	s_add_co_u32 s6, s6, __assert_fail@rel32@lo+12
	s_wait_alu 0xfffe
	s_add_co_ci_u32 s7, s7, __assert_fail@rel32@hi+24
	s_mov_b64 s[8:9], s[34:35]
	s_wait_alu 0xfffe
	s_swappc_b64 s[30:31], s[6:7]
	s_or_b32 s0, s17, exec_lo
.LBB2_404:
	s_or_b32 exec_lo, exec_lo, s21
	v_mov_b32_e32 v64, -1
	v_mov_b32_e32 v54, -1
	s_and_not1_b32 s1, s18, exec_lo
	s_and_b32 s2, s20, exec_lo
	s_and_not1_b32 s3, s17, exec_lo
	s_wait_alu 0xfffe
	s_and_b32 s0, s0, exec_lo
	s_or_b32 s18, s1, s2
	s_wait_alu 0xfffe
	s_or_b32 s17, s3, s0
.LBB2_405:
	s_wait_alu 0xfffe
	s_or_b32 exec_lo, exec_lo, s19
	s_delay_alu instid0(SALU_CYCLE_1)
	s_and_not1_b32 s2, s36, exec_lo
	s_and_b32 s3, s17, exec_lo
	s_and_b32 s0, s18, exec_lo
	s_xor_b32 s1, exec_lo, -1
	s_wait_alu 0xfffe
	s_or_b32 s2, s2, s3
.LBB2_406:
	s_wait_alu 0xfffe
	s_or_b32 exec_lo, exec_lo, s38
	s_delay_alu instid0(SALU_CYCLE_1)
	s_and_not1_b32 s3, s36, exec_lo
	s_and_b32 s2, s2, exec_lo
	s_and_b32 s0, s0, exec_lo
	;; [unrolled: 1-line block ×3, first 2 shown]
	s_wait_alu 0xfffe
	s_or_b32 s36, s3, s2
	s_or_b32 exec_lo, exec_lo, s37
	s_wait_alu 0xfffe
	s_and_saveexec_b32 s1, s36
	s_wait_alu 0xfffe
	s_xor_b32 s1, exec_lo, s1
	s_cbranch_execnz .LBB2_8
.LBB2_407:
	s_wait_alu 0xfffe
	s_or_b32 exec_lo, exec_lo, s1
	s_and_saveexec_b32 s1, s17
	s_cbranch_execz .LBB2_409
.LBB2_408:
	v_mov_b32_e32 v64, 0
	s_or_b32 s0, s0, exec_lo
	s_delay_alu instid0(VALU_DEP_1)
	v_dual_mov_b32 v65, v64 :: v_dual_mov_b32 v66, v64
	v_dual_mov_b32 v67, v64 :: v_dual_mov_b32 v54, v64
	flat_store_b128 v[41:42], v[64:67]
.LBB2_409:
	s_wait_alu 0xfffe
	s_or_b32 exec_lo, exec_lo, s1
	s_and_saveexec_b32 s1, s0
; %bb.410:
	v_mov_b32_e32 v54, v64
; %bb.411:
	s_wait_alu 0xfffe
	s_or_b32 exec_lo, exec_lo, s1
	s_clause 0xa
	scratch_load_b32 v58, off, s33
	scratch_load_b32 v57, off, s33 offset:4
	scratch_load_b32 v56, off, s33 offset:8
	;; [unrolled: 1-line block ×10, first 2 shown]
	v_readlane_b32 s30, v59, 12
	v_mov_b32_e32 v0, v54
	v_readlane_b32 s31, v59, 13
	v_readlane_b32 s53, v59, 11
	;; [unrolled: 1-line block ×13, first 2 shown]
	s_mov_b32 s32, s33
	v_readlane_b32 s0, v59, 14
	s_or_saveexec_b32 s1, -1
	scratch_load_b32 v59, off, s33 offset:96 ; 4-byte Folded Reload
	s_wait_alu 0xfffe
	s_mov_b32 exec_lo, s1
	s_mov_b32 s33, s0
	s_wait_loadcnt_dscnt 0x0
	s_wait_alu 0xfffc
	s_setpc_b64 s[30:31]
.Lfunc_end2:
	.size	_ZN3sop14minatoIsop5RecEjjiPNS_3SopEP7VecsMemIjLi8192EE, .Lfunc_end2-_ZN3sop14minatoIsop5RecEjjiPNS_3SopEP7VecsMemIjLi8192EE
                                        ; -- End function
	.set .L_ZN3sop14minatoIsop5RecEjjiPNS_3SopEP7VecsMemIjLi8192EE.num_vgpr, max(69, .L__assert_fail.num_vgpr)
	.set .L_ZN3sop14minatoIsop5RecEjjiPNS_3SopEP7VecsMemIjLi8192EE.num_agpr, max(0, .L__assert_fail.num_agpr)
	.set .L_ZN3sop14minatoIsop5RecEjjiPNS_3SopEP7VecsMemIjLi8192EE.numbered_sgpr, max(54, .L__assert_fail.numbered_sgpr)
	.set .L_ZN3sop14minatoIsop5RecEjjiPNS_3SopEP7VecsMemIjLi8192EE.num_named_barrier, max(0, .L__assert_fail.num_named_barrier)
	.set .L_ZN3sop14minatoIsop5RecEjjiPNS_3SopEP7VecsMemIjLi8192EE.private_seg_size, 112+max(.L__assert_fail.private_seg_size)
	.set .L_ZN3sop14minatoIsop5RecEjjiPNS_3SopEP7VecsMemIjLi8192EE.uses_vcc, or(1, .L__assert_fail.uses_vcc)
	.set .L_ZN3sop14minatoIsop5RecEjjiPNS_3SopEP7VecsMemIjLi8192EE.uses_flat_scratch, or(1, .L__assert_fail.uses_flat_scratch)
	.set .L_ZN3sop14minatoIsop5RecEjjiPNS_3SopEP7VecsMemIjLi8192EE.has_dyn_sized_stack, or(0, .L__assert_fail.has_dyn_sized_stack)
	.set .L_ZN3sop14minatoIsop5RecEjjiPNS_3SopEP7VecsMemIjLi8192EE.has_recursion, or(1, .L__assert_fail.has_recursion)
	.set .L_ZN3sop14minatoIsop5RecEjjiPNS_3SopEP7VecsMemIjLi8192EE.has_indirect_call, or(0, .L__assert_fail.has_indirect_call)
	.section	.AMDGPU.csdata,"",@progbits
; Function info:
; codeLenInByte = 18024
; TotalNumSgprs: 56
; NumVgprs: 69
; ScratchSize: 176
; MemoryBound: 0
	.text
	.p2align	2                               ; -- Begin function _ZN3sop13minatoIsopRecEPKjS1_iPNS_3SopEP7VecsMemIjLi8192EE
	.type	_ZN3sop13minatoIsopRecEPKjS1_iPNS_3SopEP7VecsMemIjLi8192EE,@function
_ZN3sop13minatoIsopRecEPKjS1_iPNS_3SopEP7VecsMemIjLi8192EE: ; @_ZN3sop13minatoIsopRecEPKjS1_iPNS_3SopEP7VecsMemIjLi8192EE
; %bb.0:
	s_wait_loadcnt_dscnt 0x0
	s_wait_expcnt 0x0
	s_wait_samplecnt 0x0
	s_wait_bvhcnt 0x0
	s_wait_kmcnt 0x0
	s_mov_b32 s0, s33
	s_mov_b32 s33, s32
	s_or_saveexec_b32 s1, -1
	scratch_store_b32 off, v79, s33 offset:144 ; 4-byte Folded Spill
	s_wait_alu 0xfffe
	s_mov_b32 exec_lo, s1
	v_writelane_b32 v79, s0, 27
	s_addk_co_i32 s32, 0xa0
	s_clause 0x16
	scratch_store_b32 off, v40, s33 offset:88
	; meta instruction
	scratch_store_b32 off, v41, s33 offset:84
	; meta instruction
	;; [unrolled: 2-line block ×22, first 2 shown]
	scratch_store_b32 off, v78, s33
	v_writelane_b32 v79, s34, 0
	v_writelane_b32 v79, s35, 1
	;; [unrolled: 1-line block ×27, first 2 shown]
	v_dual_mov_b32 v59, v1 :: v_dual_mov_b32 v58, v0
	v_dual_mov_b32 v41, 0 :: v_dual_add_nc_u32 v0, -5, v4
	v_cmp_lt_i32_e32 vcc_lo, 5, v4
	v_dual_mov_b32 v44, v8 :: v_dual_mov_b32 v43, v7
	s_delay_alu instid0(VALU_DEP_3) | instskip(SKIP_3) | instid1(VALU_DEP_3)
	v_lshlrev_b32_e64 v0, v0, 1
	v_dual_mov_b32 v46, v6 :: v_dual_mov_b32 v45, v5
	v_dual_mov_b32 v57, v3 :: v_dual_mov_b32 v56, v2
	s_wait_alu 0xfffd
	v_dual_cndmask_b32 v73, 1, v0 :: v_dual_mov_b32 v42, 0
	s_mov_b32 s64, 0
	s_mov_b32 s0, -1
	s_mov_b32 s17, exec_lo
	s_delay_alu instid0(VALU_DEP_1)
	v_cmpx_lt_i32_e32 0, v73
	s_cbranch_execnz .LBB3_5
; %bb.1:
	s_wait_alu 0xfffe
	s_or_b32 exec_lo, exec_lo, s17
	s_and_saveexec_b32 s65, s0
	s_cbranch_execnz .LBB3_143
.LBB3_2:
	s_wait_alu 0xfffe
	s_or_b32 exec_lo, exec_lo, s65
	s_and_saveexec_b32 s0, s64
.LBB3_3:
	; divergent unreachable
.LBB3_4:
	s_wait_alu 0xfffe
	s_or_b32 exec_lo, exec_lo, s0
	v_dual_mov_b32 v0, v41 :: v_dual_mov_b32 v1, v42
	s_clause 0x16
	scratch_load_b32 v78, off, s33
	scratch_load_b32 v77, off, s33 offset:4
	scratch_load_b32 v76, off, s33 offset:8
	;; [unrolled: 1-line block ×22, first 2 shown]
	v_readlane_b32 s30, v79, 25
	v_readlane_b32 s31, v79, 26
	;; [unrolled: 1-line block ×27, first 2 shown]
	s_mov_b32 s32, s33
	v_readlane_b32 s0, v79, 27
	s_or_saveexec_b32 s1, -1
	scratch_load_b32 v79, off, s33 offset:144 ; 4-byte Folded Reload
	s_wait_alu 0xfffe
	s_mov_b32 exec_lo, s1
	s_mov_b32 s33, s0
	s_wait_loadcnt_dscnt 0x0
	s_wait_alu 0xfffe
	s_setpc_b64 s[30:31]
.LBB3_5:
	flat_load_b32 v0, v[43:44]
	s_mov_b32 s0, 0
	s_mov_b32 s20, 0
	s_mov_b32 s1, exec_lo
	v_mov_b32_e32 v41, 0
	v_mov_b32_e32 v42, 0
	s_wait_loadcnt_dscnt 0x0
	v_add_nc_u32_e32 v0, v0, v73
	s_delay_alu instid0(VALU_DEP_1)
	v_cmpx_gt_i32_e32 0x2001, v0
	s_wait_alu 0xfffe
	s_xor_b32 s1, exec_lo, s1
	s_cbranch_execz .LBB3_7
; %bb.6:
	v_ashrrev_i32_e32 v1, 31, v0
	v_mov_b32_e32 v74, 0
	s_mov_b32 s20, exec_lo
	flat_store_b32 v[43:44], v0
	v_lshlrev_b64_e32 v[1:2], 2, v[0:1]
	v_lshlrev_b64_e32 v[5:6], 2, v[73:74]
	s_delay_alu instid0(VALU_DEP_2) | instskip(SKIP_1) | instid1(VALU_DEP_3)
	v_add_co_u32 v1, vcc_lo, v43, v1
	s_wait_alu 0xfffd
	v_add_co_ci_u32_e64 v2, null, v44, v2, vcc_lo
	s_delay_alu instid0(VALU_DEP_2) | instskip(SKIP_1) | instid1(VALU_DEP_2)
	v_sub_co_u32 v1, vcc_lo, v1, v5
	s_wait_alu 0xfffd
	v_sub_co_ci_u32_e64 v2, null, v2, v6, vcc_lo
	s_delay_alu instid0(VALU_DEP_2) | instskip(SKIP_1) | instid1(VALU_DEP_2)
	v_add_co_u32 v41, vcc_lo, v1, 4
	s_wait_alu 0xfffd
	v_add_co_ci_u32_e64 v42, null, 0, v2, vcc_lo
.LBB3_7:
	s_wait_alu 0xfffe
	s_and_not1_saveexec_b32 s21, s1
	s_cbranch_execz .LBB3_142
; %bb.8:
	s_load_b64 s[2:3], s[8:9], 0x50
	v_mbcnt_lo_u32_b32 v32, -1, 0
	v_mov_b32_e32 v7, 0
	v_mov_b32_e32 v8, 0
	s_delay_alu instid0(VALU_DEP_3) | instskip(SKIP_1) | instid1(VALU_DEP_1)
	v_readfirstlane_b32 s0, v32
	s_wait_alu 0xf1ff
	v_cmp_eq_u32_e64 s0, s0, v32
	s_and_saveexec_b32 s1, s0
	s_cbranch_execz .LBB3_14
; %bb.9:
	v_mov_b32_e32 v0, 0
	s_mov_b32 s4, exec_lo
	s_wait_kmcnt 0x0
	global_load_b64 v[9:10], v0, s[2:3] offset:24 scope:SCOPE_SYS
	s_wait_loadcnt 0x0
	global_inv scope:SCOPE_SYS
	s_clause 0x1
	global_load_b64 v[1:2], v0, s[2:3] offset:40
	global_load_b64 v[5:6], v0, s[2:3]
	s_wait_loadcnt 0x1
	v_and_b32_e32 v2, v2, v10
	v_and_b32_e32 v1, v1, v9
	s_delay_alu instid0(VALU_DEP_2) | instskip(NEXT) | instid1(VALU_DEP_2)
	v_mul_lo_u32 v2, 24, v2
	v_mul_lo_u32 v3, 0, v1
	v_mul_hi_u32 v7, 24, v1
	v_mul_lo_u32 v1, 24, v1
	s_delay_alu instid0(VALU_DEP_3) | instskip(SKIP_1) | instid1(VALU_DEP_2)
	v_add_nc_u32_e32 v2, v2, v3
	s_wait_loadcnt 0x0
	v_add_co_u32 v1, vcc_lo, v5, v1
	s_delay_alu instid0(VALU_DEP_2) | instskip(SKIP_1) | instid1(VALU_DEP_1)
	v_add_nc_u32_e32 v2, v2, v7
	s_wait_alu 0xfffd
	v_add_co_ci_u32_e64 v2, null, v6, v2, vcc_lo
	global_load_b64 v[7:8], v[1:2], off scope:SCOPE_SYS
	s_wait_loadcnt 0x0
	global_atomic_cmpswap_b64 v[7:8], v0, v[7:10], s[2:3] offset:24 th:TH_ATOMIC_RETURN scope:SCOPE_SYS
	s_wait_loadcnt 0x0
	global_inv scope:SCOPE_SYS
	v_cmpx_ne_u64_e64 v[7:8], v[9:10]
	s_cbranch_execz .LBB3_13
; %bb.10:
	s_mov_b32 s5, 0
.LBB3_11:                               ; =>This Inner Loop Header: Depth=1
	s_sleep 1
	s_clause 0x1
	global_load_b64 v[1:2], v0, s[2:3] offset:40
	global_load_b64 v[5:6], v0, s[2:3]
	v_dual_mov_b32 v10, v8 :: v_dual_mov_b32 v9, v7
	s_wait_loadcnt 0x1
	s_delay_alu instid0(VALU_DEP_1) | instskip(NEXT) | instid1(VALU_DEP_2)
	v_and_b32_e32 v1, v1, v9
	v_and_b32_e32 v2, v2, v10
	s_wait_loadcnt 0x0
	s_delay_alu instid0(VALU_DEP_2) | instskip(NEXT) | instid1(VALU_DEP_1)
	v_mad_co_u64_u32 v[5:6], null, v1, 24, v[5:6]
	v_mov_b32_e32 v1, v6
	s_delay_alu instid0(VALU_DEP_1) | instskip(NEXT) | instid1(VALU_DEP_1)
	v_mad_co_u64_u32 v[1:2], null, v2, 24, v[1:2]
	v_mov_b32_e32 v6, v1
	global_load_b64 v[7:8], v[5:6], off scope:SCOPE_SYS
	s_wait_loadcnt 0x0
	global_atomic_cmpswap_b64 v[7:8], v0, v[7:10], s[2:3] offset:24 th:TH_ATOMIC_RETURN scope:SCOPE_SYS
	s_wait_loadcnt 0x0
	global_inv scope:SCOPE_SYS
	v_cmp_eq_u64_e32 vcc_lo, v[7:8], v[9:10]
	s_wait_alu 0xfffe
	s_or_b32 s5, vcc_lo, s5
	s_wait_alu 0xfffe
	s_and_not1_b32 exec_lo, exec_lo, s5
	s_cbranch_execnz .LBB3_11
; %bb.12:
	s_or_b32 exec_lo, exec_lo, s5
.LBB3_13:
	s_wait_alu 0xfffe
	s_or_b32 exec_lo, exec_lo, s4
.LBB3_14:
	s_wait_alu 0xfffe
	s_or_b32 exec_lo, exec_lo, s1
	v_readfirstlane_b32 s4, v7
	v_mov_b32_e32 v6, 0
	v_readfirstlane_b32 s5, v8
	s_mov_b32 s1, exec_lo
	s_wait_kmcnt 0x0
	s_clause 0x1
	global_load_b64 v[9:10], v6, s[2:3] offset:40
	global_load_b128 v[0:3], v6, s[2:3]
	s_wait_loadcnt 0x1
	s_wait_alu 0xf1ff
	v_and_b32_e32 v12, s5, v10
	v_and_b32_e32 v11, s4, v9
	s_delay_alu instid0(VALU_DEP_2) | instskip(NEXT) | instid1(VALU_DEP_2)
	v_mul_lo_u32 v5, 24, v12
	v_mul_lo_u32 v7, 0, v11
	v_mul_hi_u32 v8, 24, v11
	v_mul_lo_u32 v9, 24, v11
	s_delay_alu instid0(VALU_DEP_3) | instskip(SKIP_1) | instid1(VALU_DEP_2)
	v_add_nc_u32_e32 v5, v5, v7
	s_wait_loadcnt 0x0
	v_add_co_u32 v9, vcc_lo, v0, v9
	s_delay_alu instid0(VALU_DEP_2) | instskip(SKIP_1) | instid1(VALU_DEP_1)
	v_add_nc_u32_e32 v5, v5, v8
	s_wait_alu 0xfffd
	v_add_co_ci_u32_e64 v10, null, v1, v5, vcc_lo
	s_and_saveexec_b32 s6, s0
	s_cbranch_execz .LBB3_16
; %bb.15:
	s_wait_alu 0xfffe
	v_dual_mov_b32 v5, s1 :: v_dual_mov_b32 v8, 1
	v_mov_b32_e32 v7, 2
	global_store_b128 v[9:10], v[5:8], off offset:8
.LBB3_16:
	s_wait_alu 0xfffe
	s_or_b32 exec_lo, exec_lo, s6
	v_lshlrev_b64_e32 v[11:12], 12, v[11:12]
	v_dual_mov_b32 v8, v6 :: v_dual_lshlrev_b32 v31, 6, v32
	s_mov_b32 s12, 0
	s_wait_alu 0xfffe
	s_mov_b32 s15, s12
	s_delay_alu instid0(VALU_DEP_2)
	v_add_co_u32 v2, vcc_lo, v2, v11
	s_wait_alu 0xfffd
	v_add_co_ci_u32_e64 v3, null, v3, v12, vcc_lo
	s_mov_b32 s13, s12
	v_add_co_u32 v11, vcc_lo, v2, v31
	s_mov_b32 s14, s12
	s_wait_alu 0xfffe
	v_dual_mov_b32 v5, 33 :: v_dual_mov_b32 v16, s15
	v_dual_mov_b32 v7, v6 :: v_dual_mov_b32 v14, s13
	v_readfirstlane_b32 s6, v2
	v_readfirstlane_b32 s7, v3
	s_wait_alu 0xfffd
	v_add_co_ci_u32_e64 v12, null, 0, v3, vcc_lo
	v_mov_b32_e32 v15, s14
	v_mov_b32_e32 v13, s12
	s_clause 0x3
	global_store_b128 v31, v[5:8], s[6:7]
	global_store_b128 v31, v[13:16], s[6:7] offset:16
	global_store_b128 v31, v[13:16], s[6:7] offset:32
	;; [unrolled: 1-line block ×3, first 2 shown]
	s_and_saveexec_b32 s1, s0
	s_cbranch_execz .LBB3_24
; %bb.17:
	v_mov_b32_e32 v7, 0
	v_mov_b32_e32 v13, s4
	s_mov_b32 s6, exec_lo
	s_clause 0x1
	global_load_b64 v[15:16], v7, s[2:3] offset:32 scope:SCOPE_SYS
	global_load_b64 v[2:3], v7, s[2:3] offset:40
	s_wait_loadcnt 0x0
	v_dual_mov_b32 v14, s5 :: v_dual_and_b32 v3, s5, v3
	v_and_b32_e32 v2, s4, v2
	s_delay_alu instid0(VALU_DEP_2) | instskip(NEXT) | instid1(VALU_DEP_2)
	v_mul_lo_u32 v3, 24, v3
	v_mul_lo_u32 v5, 0, v2
	v_mul_hi_u32 v6, 24, v2
	v_mul_lo_u32 v2, 24, v2
	s_delay_alu instid0(VALU_DEP_3) | instskip(NEXT) | instid1(VALU_DEP_2)
	v_add_nc_u32_e32 v3, v3, v5
	v_add_co_u32 v5, vcc_lo, v0, v2
	s_delay_alu instid0(VALU_DEP_2) | instskip(SKIP_1) | instid1(VALU_DEP_1)
	v_add_nc_u32_e32 v3, v3, v6
	s_wait_alu 0xfffd
	v_add_co_ci_u32_e64 v6, null, v1, v3, vcc_lo
	global_store_b64 v[5:6], v[15:16], off
	global_wb scope:SCOPE_SYS
	s_wait_storecnt 0x0
	global_atomic_cmpswap_b64 v[2:3], v7, v[13:16], s[2:3] offset:32 th:TH_ATOMIC_RETURN scope:SCOPE_SYS
	s_wait_loadcnt 0x0
	v_cmpx_ne_u64_e64 v[2:3], v[15:16]
	s_cbranch_execz .LBB3_20
; %bb.18:
	s_mov_b32 s7, 0
.LBB3_19:                               ; =>This Inner Loop Header: Depth=1
	v_dual_mov_b32 v0, s4 :: v_dual_mov_b32 v1, s5
	s_sleep 1
	global_store_b64 v[5:6], v[2:3], off
	global_wb scope:SCOPE_SYS
	s_wait_storecnt 0x0
	global_atomic_cmpswap_b64 v[0:1], v7, v[0:3], s[2:3] offset:32 th:TH_ATOMIC_RETURN scope:SCOPE_SYS
	s_wait_loadcnt 0x0
	v_cmp_eq_u64_e32 vcc_lo, v[0:1], v[2:3]
	v_dual_mov_b32 v3, v1 :: v_dual_mov_b32 v2, v0
	s_wait_alu 0xfffe
	s_or_b32 s7, vcc_lo, s7
	s_wait_alu 0xfffe
	s_and_not1_b32 exec_lo, exec_lo, s7
	s_cbranch_execnz .LBB3_19
.LBB3_20:
	s_wait_alu 0xfffe
	s_or_b32 exec_lo, exec_lo, s6
	v_mov_b32_e32 v3, 0
	s_mov_b32 s7, exec_lo
	s_mov_b32 s6, exec_lo
	s_wait_alu 0xfffe
	v_mbcnt_lo_u32_b32 v2, s7, 0
	global_load_b64 v[0:1], v3, s[2:3] offset:16
	v_cmpx_eq_u32_e32 0, v2
	s_cbranch_execz .LBB3_22
; %bb.21:
	s_bcnt1_i32_b32 s7, s7
	s_wait_alu 0xfffe
	v_mov_b32_e32 v2, s7
	global_wb scope:SCOPE_SYS
	s_wait_loadcnt 0x0
	s_wait_storecnt 0x0
	global_atomic_add_u64 v[0:1], v[2:3], off offset:8 scope:SCOPE_SYS
.LBB3_22:
	s_or_b32 exec_lo, exec_lo, s6
	s_wait_loadcnt 0x0
	global_load_b64 v[2:3], v[0:1], off offset:16
	s_wait_loadcnt 0x0
	v_cmp_eq_u64_e32 vcc_lo, 0, v[2:3]
	s_cbranch_vccnz .LBB3_24
; %bb.23:
	global_load_b32 v0, v[0:1], off offset:24
	v_mov_b32_e32 v1, 0
	s_wait_loadcnt 0x0
	v_readfirstlane_b32 s6, v0
	global_wb scope:SCOPE_SYS
	s_wait_storecnt 0x0
	global_store_b64 v[2:3], v[0:1], off scope:SCOPE_SYS
	s_and_b32 m0, s6, 0xffffff
	s_sendmsg sendmsg(MSG_INTERRUPT)
.LBB3_24:
	s_wait_alu 0xfffe
	s_or_b32 exec_lo, exec_lo, s1
	s_branch .LBB3_28
.LBB3_25:                               ;   in Loop: Header=BB3_28 Depth=1
	s_wait_alu 0xfffe
	s_or_b32 exec_lo, exec_lo, s1
	s_delay_alu instid0(VALU_DEP_1)
	v_readfirstlane_b32 s1, v0
	s_cmp_eq_u32 s1, 0
	s_cbranch_scc1 .LBB3_27
; %bb.26:                               ;   in Loop: Header=BB3_28 Depth=1
	s_sleep 1
	s_cbranch_execnz .LBB3_28
	s_branch .LBB3_30
.LBB3_27:
	s_branch .LBB3_30
.LBB3_28:                               ; =>This Inner Loop Header: Depth=1
	v_mov_b32_e32 v0, 1
	s_and_saveexec_b32 s1, s0
	s_cbranch_execz .LBB3_25
; %bb.29:                               ;   in Loop: Header=BB3_28 Depth=1
	global_load_b32 v0, v[9:10], off offset:20 scope:SCOPE_SYS
	s_wait_loadcnt 0x0
	global_inv scope:SCOPE_SYS
	v_and_b32_e32 v0, 1, v0
	s_branch .LBB3_25
.LBB3_30:
	global_load_b64 v[0:1], v[11:12], off
	s_and_saveexec_b32 s6, s0
	s_cbranch_execz .LBB3_34
; %bb.31:
	v_mov_b32_e32 v9, 0
	s_clause 0x2
	global_load_b64 v[2:3], v9, s[2:3] offset:40
	global_load_b64 v[12:13], v9, s[2:3] offset:24 scope:SCOPE_SYS
	global_load_b64 v[5:6], v9, s[2:3]
	s_wait_loadcnt 0x2
	v_readfirstlane_b32 s10, v2
	v_readfirstlane_b32 s11, v3
	s_add_nc_u64 s[0:1], s[10:11], 1
	s_wait_alu 0xfffe
	s_add_nc_u64 s[4:5], s[0:1], s[4:5]
	s_wait_alu 0xfffe
	s_cmp_eq_u64 s[4:5], 0
	s_cselect_b32 s1, s1, s5
	s_cselect_b32 s0, s0, s4
	s_wait_alu 0xfffe
	v_mov_b32_e32 v11, s1
	s_and_b64 s[4:5], s[0:1], s[10:11]
	v_mov_b32_e32 v10, s0
	s_wait_alu 0xfffe
	s_mul_u64 s[4:5], s[4:5], 24
	s_wait_loadcnt 0x0
	s_wait_alu 0xfffe
	v_add_co_u32 v2, vcc_lo, v5, s4
	s_wait_alu 0xfffd
	v_add_co_ci_u32_e64 v3, null, s5, v6, vcc_lo
	global_store_b64 v[2:3], v[12:13], off
	global_wb scope:SCOPE_SYS
	s_wait_storecnt 0x0
	global_atomic_cmpswap_b64 v[7:8], v9, v[10:13], s[2:3] offset:24 th:TH_ATOMIC_RETURN scope:SCOPE_SYS
	s_wait_loadcnt 0x0
	v_cmp_ne_u64_e32 vcc_lo, v[7:8], v[12:13]
	s_and_b32 exec_lo, exec_lo, vcc_lo
	s_cbranch_execz .LBB3_34
; %bb.32:
	s_mov_b32 s4, 0
.LBB3_33:                               ; =>This Inner Loop Header: Depth=1
	v_dual_mov_b32 v5, s0 :: v_dual_mov_b32 v6, s1
	s_sleep 1
	global_store_b64 v[2:3], v[7:8], off
	global_wb scope:SCOPE_SYS
	s_wait_storecnt 0x0
	global_atomic_cmpswap_b64 v[5:6], v9, v[5:8], s[2:3] offset:24 th:TH_ATOMIC_RETURN scope:SCOPE_SYS
	s_wait_loadcnt 0x0
	v_cmp_eq_u64_e32 vcc_lo, v[5:6], v[7:8]
	v_dual_mov_b32 v8, v6 :: v_dual_mov_b32 v7, v5
	s_wait_alu 0xfffe
	s_or_b32 s4, vcc_lo, s4
	s_wait_alu 0xfffe
	s_and_not1_b32 exec_lo, exec_lo, s4
	s_cbranch_execnz .LBB3_33
.LBB3_34:
	s_wait_alu 0xfffe
	s_or_b32 exec_lo, exec_lo, s6
	s_getpc_b64 s[4:5]
	s_wait_alu 0xfffe
	s_sext_i32_i16 s5, s5
	s_add_co_u32 s4, s4, .str.28@rel32@lo+12
	s_wait_alu 0xfffe
	s_add_co_ci_u32 s5, s5, .str.28@rel32@hi+24
	s_wait_alu 0xfffe
	s_cmp_lg_u64 s[4:5], 0
	s_cbranch_scc0 .LBB3_113
; %bb.35:
	s_wait_loadcnt 0x0
	v_dual_mov_b32 v10, v1 :: v_dual_and_b32 v9, -3, v0
	v_dual_mov_b32 v6, 0 :: v_dual_mov_b32 v7, 2
	v_mov_b32_e32 v8, 1
	s_mov_b64 s[6:7], 35
	s_branch .LBB3_37
.LBB3_36:                               ;   in Loop: Header=BB3_37 Depth=1
	s_wait_alu 0xfffe
	s_or_b32 exec_lo, exec_lo, s14
	s_sub_nc_u64 s[6:7], s[6:7], s[10:11]
	s_add_nc_u64 s[4:5], s[4:5], s[10:11]
	s_wait_alu 0xfffe
	s_cmp_lg_u64 s[6:7], 0
	s_cbranch_scc0 .LBB3_112
.LBB3_37:                               ; =>This Loop Header: Depth=1
                                        ;     Child Loop BB3_40 Depth 2
                                        ;     Child Loop BB3_47 Depth 2
	;; [unrolled: 1-line block ×11, first 2 shown]
	s_wait_alu 0xfffe
	v_cmp_lt_u64_e64 s0, s[6:7], 56
	v_cmp_gt_u64_e64 s1, s[6:7], 7
	s_and_b32 s0, s0, exec_lo
	s_cselect_b32 s11, s7, 0
	s_cselect_b32 s10, s6, 56
	s_and_b32 vcc_lo, exec_lo, s1
	s_wait_alu 0xfffe
	s_cbranch_vccnz .LBB3_42
; %bb.38:                               ;   in Loop: Header=BB3_37 Depth=1
	s_wait_loadcnt 0x0
	v_mov_b32_e32 v11, 0
	v_mov_b32_e32 v12, 0
	s_cmp_eq_u64 s[6:7], 0
	s_cbranch_scc1 .LBB3_41
; %bb.39:                               ;   in Loop: Header=BB3_37 Depth=1
	s_mov_b64 s[0:1], 0
	s_mov_b64 s[12:13], 0
.LBB3_40:                               ;   Parent Loop BB3_37 Depth=1
                                        ; =>  This Inner Loop Header: Depth=2
	s_wait_alu 0xfffe
	s_add_nc_u64 s[14:15], s[4:5], s[12:13]
	s_add_nc_u64 s[12:13], s[12:13], 1
	global_load_u8 v2, v6, s[14:15]
	s_wait_alu 0xfffe
	s_cmp_lg_u32 s10, s12
	s_wait_loadcnt 0x0
	v_and_b32_e32 v5, 0xffff, v2
	s_delay_alu instid0(VALU_DEP_1) | instskip(SKIP_1) | instid1(VALU_DEP_1)
	v_lshlrev_b64_e32 v[2:3], s0, v[5:6]
	s_add_nc_u64 s[0:1], s[0:1], 8
	v_or_b32_e32 v11, v2, v11
	s_delay_alu instid0(VALU_DEP_2)
	v_or_b32_e32 v12, v3, v12
	s_cbranch_scc1 .LBB3_40
.LBB3_41:                               ;   in Loop: Header=BB3_37 Depth=1
	s_mov_b64 s[12:13], s[4:5]
	s_mov_b32 s16, 0
	s_cbranch_execz .LBB3_43
	s_branch .LBB3_44
.LBB3_42:                               ;   in Loop: Header=BB3_37 Depth=1
	s_add_nc_u64 s[12:13], s[4:5], 8
	s_mov_b32 s16, 0
.LBB3_43:                               ;   in Loop: Header=BB3_37 Depth=1
	s_wait_loadcnt 0x0
	global_load_b64 v[11:12], v6, s[4:5]
	s_add_co_i32 s16, s10, -8
.LBB3_44:                               ;   in Loop: Header=BB3_37 Depth=1
	s_wait_alu 0xfffe
	s_cmp_gt_u32 s16, 7
	s_cbranch_scc1 .LBB3_49
; %bb.45:                               ;   in Loop: Header=BB3_37 Depth=1
	v_mov_b32_e32 v13, 0
	v_mov_b32_e32 v14, 0
	s_cmp_eq_u32 s16, 0
	s_cbranch_scc1 .LBB3_48
; %bb.46:                               ;   in Loop: Header=BB3_37 Depth=1
	s_mov_b64 s[0:1], 0
	s_mov_b64 s[14:15], 0
.LBB3_47:                               ;   Parent Loop BB3_37 Depth=1
                                        ; =>  This Inner Loop Header: Depth=2
	s_wait_alu 0xfffe
	s_add_nc_u64 s[18:19], s[12:13], s[14:15]
	s_add_nc_u64 s[14:15], s[14:15], 1
	global_load_u8 v2, v6, s[18:19]
	s_wait_alu 0xfffe
	s_cmp_lg_u32 s16, s14
	s_wait_loadcnt 0x0
	v_and_b32_e32 v5, 0xffff, v2
	s_delay_alu instid0(VALU_DEP_1) | instskip(SKIP_1) | instid1(VALU_DEP_1)
	v_lshlrev_b64_e32 v[2:3], s0, v[5:6]
	s_add_nc_u64 s[0:1], s[0:1], 8
	v_or_b32_e32 v13, v2, v13
	s_delay_alu instid0(VALU_DEP_2)
	v_or_b32_e32 v14, v3, v14
	s_cbranch_scc1 .LBB3_47
.LBB3_48:                               ;   in Loop: Header=BB3_37 Depth=1
	s_mov_b64 s[0:1], s[12:13]
	s_mov_b32 s18, 0
	s_cbranch_execz .LBB3_50
	s_branch .LBB3_51
.LBB3_49:                               ;   in Loop: Header=BB3_37 Depth=1
	s_add_nc_u64 s[0:1], s[12:13], 8
                                        ; implicit-def: $vgpr13_vgpr14
	s_mov_b32 s18, 0
.LBB3_50:                               ;   in Loop: Header=BB3_37 Depth=1
	global_load_b64 v[13:14], v6, s[12:13]
	s_add_co_i32 s18, s16, -8
.LBB3_51:                               ;   in Loop: Header=BB3_37 Depth=1
	s_wait_alu 0xfffe
	s_cmp_gt_u32 s18, 7
	s_cbranch_scc1 .LBB3_56
; %bb.52:                               ;   in Loop: Header=BB3_37 Depth=1
	v_mov_b32_e32 v15, 0
	v_mov_b32_e32 v16, 0
	s_cmp_eq_u32 s18, 0
	s_cbranch_scc1 .LBB3_55
; %bb.53:                               ;   in Loop: Header=BB3_37 Depth=1
	s_mov_b64 s[12:13], 0
	s_mov_b64 s[14:15], 0
.LBB3_54:                               ;   Parent Loop BB3_37 Depth=1
                                        ; =>  This Inner Loop Header: Depth=2
	s_wait_alu 0xfffe
	s_add_nc_u64 s[22:23], s[0:1], s[14:15]
	s_add_nc_u64 s[14:15], s[14:15], 1
	global_load_u8 v2, v6, s[22:23]
	s_wait_alu 0xfffe
	s_cmp_lg_u32 s18, s14
	s_wait_loadcnt 0x0
	v_and_b32_e32 v5, 0xffff, v2
	s_delay_alu instid0(VALU_DEP_1) | instskip(SKIP_1) | instid1(VALU_DEP_1)
	v_lshlrev_b64_e32 v[2:3], s12, v[5:6]
	s_add_nc_u64 s[12:13], s[12:13], 8
	v_or_b32_e32 v15, v2, v15
	s_delay_alu instid0(VALU_DEP_2)
	v_or_b32_e32 v16, v3, v16
	s_cbranch_scc1 .LBB3_54
.LBB3_55:                               ;   in Loop: Header=BB3_37 Depth=1
	s_mov_b64 s[12:13], s[0:1]
	s_mov_b32 s16, 0
	s_cbranch_execz .LBB3_57
	s_branch .LBB3_58
.LBB3_56:                               ;   in Loop: Header=BB3_37 Depth=1
	s_add_nc_u64 s[12:13], s[0:1], 8
	s_mov_b32 s16, 0
.LBB3_57:                               ;   in Loop: Header=BB3_37 Depth=1
	global_load_b64 v[15:16], v6, s[0:1]
	s_add_co_i32 s16, s18, -8
.LBB3_58:                               ;   in Loop: Header=BB3_37 Depth=1
	s_wait_alu 0xfffe
	s_cmp_gt_u32 s16, 7
	s_cbranch_scc1 .LBB3_63
; %bb.59:                               ;   in Loop: Header=BB3_37 Depth=1
	v_mov_b32_e32 v17, 0
	v_mov_b32_e32 v18, 0
	s_cmp_eq_u32 s16, 0
	s_cbranch_scc1 .LBB3_62
; %bb.60:                               ;   in Loop: Header=BB3_37 Depth=1
	s_mov_b64 s[0:1], 0
	s_mov_b64 s[14:15], 0
.LBB3_61:                               ;   Parent Loop BB3_37 Depth=1
                                        ; =>  This Inner Loop Header: Depth=2
	s_wait_alu 0xfffe
	s_add_nc_u64 s[18:19], s[12:13], s[14:15]
	s_add_nc_u64 s[14:15], s[14:15], 1
	global_load_u8 v2, v6, s[18:19]
	s_wait_alu 0xfffe
	s_cmp_lg_u32 s16, s14
	s_wait_loadcnt 0x0
	v_and_b32_e32 v5, 0xffff, v2
	s_delay_alu instid0(VALU_DEP_1) | instskip(SKIP_1) | instid1(VALU_DEP_1)
	v_lshlrev_b64_e32 v[2:3], s0, v[5:6]
	s_add_nc_u64 s[0:1], s[0:1], 8
	v_or_b32_e32 v17, v2, v17
	s_delay_alu instid0(VALU_DEP_2)
	v_or_b32_e32 v18, v3, v18
	s_cbranch_scc1 .LBB3_61
.LBB3_62:                               ;   in Loop: Header=BB3_37 Depth=1
	s_mov_b64 s[0:1], s[12:13]
	s_mov_b32 s18, 0
	s_cbranch_execz .LBB3_64
	s_branch .LBB3_65
.LBB3_63:                               ;   in Loop: Header=BB3_37 Depth=1
	s_add_nc_u64 s[0:1], s[12:13], 8
                                        ; implicit-def: $vgpr17_vgpr18
	s_mov_b32 s18, 0
.LBB3_64:                               ;   in Loop: Header=BB3_37 Depth=1
	global_load_b64 v[17:18], v6, s[12:13]
	s_add_co_i32 s18, s16, -8
.LBB3_65:                               ;   in Loop: Header=BB3_37 Depth=1
	s_wait_alu 0xfffe
	s_cmp_gt_u32 s18, 7
	s_cbranch_scc1 .LBB3_70
; %bb.66:                               ;   in Loop: Header=BB3_37 Depth=1
	v_mov_b32_e32 v19, 0
	v_mov_b32_e32 v20, 0
	s_cmp_eq_u32 s18, 0
	s_cbranch_scc1 .LBB3_69
; %bb.67:                               ;   in Loop: Header=BB3_37 Depth=1
	s_mov_b64 s[12:13], 0
	s_mov_b64 s[14:15], 0
.LBB3_68:                               ;   Parent Loop BB3_37 Depth=1
                                        ; =>  This Inner Loop Header: Depth=2
	s_wait_alu 0xfffe
	s_add_nc_u64 s[22:23], s[0:1], s[14:15]
	s_add_nc_u64 s[14:15], s[14:15], 1
	global_load_u8 v2, v6, s[22:23]
	s_wait_alu 0xfffe
	s_cmp_lg_u32 s18, s14
	s_wait_loadcnt 0x0
	v_and_b32_e32 v5, 0xffff, v2
	s_delay_alu instid0(VALU_DEP_1) | instskip(SKIP_1) | instid1(VALU_DEP_1)
	v_lshlrev_b64_e32 v[2:3], s12, v[5:6]
	s_add_nc_u64 s[12:13], s[12:13], 8
	v_or_b32_e32 v19, v2, v19
	s_delay_alu instid0(VALU_DEP_2)
	v_or_b32_e32 v20, v3, v20
	s_cbranch_scc1 .LBB3_68
.LBB3_69:                               ;   in Loop: Header=BB3_37 Depth=1
	s_mov_b64 s[12:13], s[0:1]
	s_mov_b32 s16, 0
	s_cbranch_execz .LBB3_71
	s_branch .LBB3_72
.LBB3_70:                               ;   in Loop: Header=BB3_37 Depth=1
	s_add_nc_u64 s[12:13], s[0:1], 8
	s_mov_b32 s16, 0
.LBB3_71:                               ;   in Loop: Header=BB3_37 Depth=1
	global_load_b64 v[19:20], v6, s[0:1]
	s_add_co_i32 s16, s18, -8
.LBB3_72:                               ;   in Loop: Header=BB3_37 Depth=1
	s_wait_alu 0xfffe
	s_cmp_gt_u32 s16, 7
	s_cbranch_scc1 .LBB3_77
; %bb.73:                               ;   in Loop: Header=BB3_37 Depth=1
	v_mov_b32_e32 v21, 0
	v_mov_b32_e32 v22, 0
	s_cmp_eq_u32 s16, 0
	s_cbranch_scc1 .LBB3_76
; %bb.74:                               ;   in Loop: Header=BB3_37 Depth=1
	s_mov_b64 s[0:1], 0
	s_mov_b64 s[14:15], 0
.LBB3_75:                               ;   Parent Loop BB3_37 Depth=1
                                        ; =>  This Inner Loop Header: Depth=2
	s_wait_alu 0xfffe
	s_add_nc_u64 s[18:19], s[12:13], s[14:15]
	s_add_nc_u64 s[14:15], s[14:15], 1
	global_load_u8 v2, v6, s[18:19]
	s_wait_alu 0xfffe
	s_cmp_lg_u32 s16, s14
	s_wait_loadcnt 0x0
	v_and_b32_e32 v5, 0xffff, v2
	s_delay_alu instid0(VALU_DEP_1) | instskip(SKIP_1) | instid1(VALU_DEP_1)
	v_lshlrev_b64_e32 v[2:3], s0, v[5:6]
	s_add_nc_u64 s[0:1], s[0:1], 8
	v_or_b32_e32 v21, v2, v21
	s_delay_alu instid0(VALU_DEP_2)
	v_or_b32_e32 v22, v3, v22
	s_cbranch_scc1 .LBB3_75
.LBB3_76:                               ;   in Loop: Header=BB3_37 Depth=1
	s_mov_b64 s[0:1], s[12:13]
	s_mov_b32 s18, 0
	s_cbranch_execz .LBB3_78
	s_branch .LBB3_79
.LBB3_77:                               ;   in Loop: Header=BB3_37 Depth=1
	s_add_nc_u64 s[0:1], s[12:13], 8
                                        ; implicit-def: $vgpr21_vgpr22
	s_mov_b32 s18, 0
.LBB3_78:                               ;   in Loop: Header=BB3_37 Depth=1
	global_load_b64 v[21:22], v6, s[12:13]
	s_add_co_i32 s18, s16, -8
.LBB3_79:                               ;   in Loop: Header=BB3_37 Depth=1
	s_wait_alu 0xfffe
	s_cmp_gt_u32 s18, 7
	s_cbranch_scc1 .LBB3_84
; %bb.80:                               ;   in Loop: Header=BB3_37 Depth=1
	v_mov_b32_e32 v23, 0
	v_mov_b32_e32 v24, 0
	s_cmp_eq_u32 s18, 0
	s_cbranch_scc1 .LBB3_83
; %bb.81:                               ;   in Loop: Header=BB3_37 Depth=1
	s_mov_b64 s[12:13], 0
	s_mov_b64 s[14:15], s[0:1]
.LBB3_82:                               ;   Parent Loop BB3_37 Depth=1
                                        ; =>  This Inner Loop Header: Depth=2
	global_load_u8 v2, v6, s[14:15]
	s_add_co_i32 s18, s18, -1
	s_wait_alu 0xfffe
	s_add_nc_u64 s[14:15], s[14:15], 1
	s_cmp_lg_u32 s18, 0
	s_wait_loadcnt 0x0
	v_and_b32_e32 v5, 0xffff, v2
	s_delay_alu instid0(VALU_DEP_1) | instskip(SKIP_1) | instid1(VALU_DEP_1)
	v_lshlrev_b64_e32 v[2:3], s12, v[5:6]
	s_add_nc_u64 s[12:13], s[12:13], 8
	v_or_b32_e32 v23, v2, v23
	s_delay_alu instid0(VALU_DEP_2)
	v_or_b32_e32 v24, v3, v24
	s_cbranch_scc1 .LBB3_82
.LBB3_83:                               ;   in Loop: Header=BB3_37 Depth=1
	s_cbranch_execz .LBB3_85
	s_branch .LBB3_86
.LBB3_84:                               ;   in Loop: Header=BB3_37 Depth=1
.LBB3_85:                               ;   in Loop: Header=BB3_37 Depth=1
	global_load_b64 v[23:24], v6, s[0:1]
.LBB3_86:                               ;   in Loop: Header=BB3_37 Depth=1
	v_readfirstlane_b32 s0, v32
	v_mov_b32_e32 v2, 0
	v_mov_b32_e32 v3, 0
	s_wait_alu 0xf1ff
	s_delay_alu instid0(VALU_DEP_3)
	v_cmp_eq_u32_e64 s0, s0, v32
	s_and_saveexec_b32 s1, s0
	s_cbranch_execz .LBB3_92
; %bb.87:                               ;   in Loop: Header=BB3_37 Depth=1
	global_load_b64 v[27:28], v6, s[2:3] offset:24 scope:SCOPE_SYS
	s_wait_loadcnt 0x0
	global_inv scope:SCOPE_SYS
	s_clause 0x1
	global_load_b64 v[2:3], v6, s[2:3] offset:40
	global_load_b64 v[25:26], v6, s[2:3]
	s_mov_b32 s12, exec_lo
	s_wait_loadcnt 0x1
	v_and_b32_e32 v3, v3, v28
	v_and_b32_e32 v2, v2, v27
	s_delay_alu instid0(VALU_DEP_2) | instskip(NEXT) | instid1(VALU_DEP_2)
	v_mul_lo_u32 v3, 24, v3
	v_mul_lo_u32 v5, 0, v2
	v_mul_hi_u32 v29, 24, v2
	v_mul_lo_u32 v2, 24, v2
	s_delay_alu instid0(VALU_DEP_3) | instskip(SKIP_1) | instid1(VALU_DEP_2)
	v_add_nc_u32_e32 v3, v3, v5
	s_wait_loadcnt 0x0
	v_add_co_u32 v2, vcc_lo, v25, v2
	s_delay_alu instid0(VALU_DEP_2) | instskip(SKIP_1) | instid1(VALU_DEP_1)
	v_add_nc_u32_e32 v3, v3, v29
	s_wait_alu 0xfffd
	v_add_co_ci_u32_e64 v3, null, v26, v3, vcc_lo
	global_load_b64 v[25:26], v[2:3], off scope:SCOPE_SYS
	s_wait_loadcnt 0x0
	global_atomic_cmpswap_b64 v[2:3], v6, v[25:28], s[2:3] offset:24 th:TH_ATOMIC_RETURN scope:SCOPE_SYS
	s_wait_loadcnt 0x0
	global_inv scope:SCOPE_SYS
	v_cmpx_ne_u64_e64 v[2:3], v[27:28]
	s_cbranch_execz .LBB3_91
; %bb.88:                               ;   in Loop: Header=BB3_37 Depth=1
	s_mov_b32 s13, 0
.LBB3_89:                               ;   Parent Loop BB3_37 Depth=1
                                        ; =>  This Inner Loop Header: Depth=2
	s_sleep 1
	s_clause 0x1
	global_load_b64 v[25:26], v6, s[2:3] offset:40
	global_load_b64 v[29:30], v6, s[2:3]
	v_dual_mov_b32 v28, v3 :: v_dual_mov_b32 v27, v2
	s_wait_loadcnt 0x1
	s_delay_alu instid0(VALU_DEP_1) | instskip(NEXT) | instid1(VALU_DEP_2)
	v_and_b32_e32 v2, v25, v27
	v_and_b32_e32 v5, v26, v28
	s_wait_loadcnt 0x0
	s_delay_alu instid0(VALU_DEP_2) | instskip(NEXT) | instid1(VALU_DEP_1)
	v_mad_co_u64_u32 v[2:3], null, v2, 24, v[29:30]
	v_mad_co_u64_u32 v[25:26], null, v5, 24, v[3:4]
	s_delay_alu instid0(VALU_DEP_1)
	v_mov_b32_e32 v3, v25
	global_load_b64 v[25:26], v[2:3], off scope:SCOPE_SYS
	s_wait_loadcnt 0x0
	global_atomic_cmpswap_b64 v[2:3], v6, v[25:28], s[2:3] offset:24 th:TH_ATOMIC_RETURN scope:SCOPE_SYS
	s_wait_loadcnt 0x0
	global_inv scope:SCOPE_SYS
	v_cmp_eq_u64_e32 vcc_lo, v[2:3], v[27:28]
	s_wait_alu 0xfffe
	s_or_b32 s13, vcc_lo, s13
	s_wait_alu 0xfffe
	s_and_not1_b32 exec_lo, exec_lo, s13
	s_cbranch_execnz .LBB3_89
; %bb.90:                               ;   in Loop: Header=BB3_37 Depth=1
	s_or_b32 exec_lo, exec_lo, s13
.LBB3_91:                               ;   in Loop: Header=BB3_37 Depth=1
	s_wait_alu 0xfffe
	s_or_b32 exec_lo, exec_lo, s12
.LBB3_92:                               ;   in Loop: Header=BB3_37 Depth=1
	s_wait_alu 0xfffe
	s_or_b32 exec_lo, exec_lo, s1
	s_clause 0x1
	global_load_b64 v[29:30], v6, s[2:3] offset:40
	global_load_b128 v[25:28], v6, s[2:3]
	v_readfirstlane_b32 s13, v3
	v_readfirstlane_b32 s12, v2
	s_mov_b32 s1, exec_lo
	s_wait_loadcnt 0x1
	s_wait_alu 0xf1ff
	v_and_b32_e32 v30, s13, v30
	v_and_b32_e32 v29, s12, v29
	s_delay_alu instid0(VALU_DEP_2) | instskip(NEXT) | instid1(VALU_DEP_2)
	v_mul_lo_u32 v2, 24, v30
	v_mul_lo_u32 v3, 0, v29
	v_mul_hi_u32 v5, 24, v29
	v_mul_lo_u32 v33, 24, v29
	s_delay_alu instid0(VALU_DEP_3) | instskip(NEXT) | instid1(VALU_DEP_1)
	v_add_nc_u32_e32 v2, v2, v3
	v_add_nc_u32_e32 v3, v2, v5
	s_wait_loadcnt 0x0
	s_delay_alu instid0(VALU_DEP_3) | instskip(SKIP_1) | instid1(VALU_DEP_2)
	v_add_co_u32 v2, vcc_lo, v25, v33
	s_wait_alu 0xfffd
	v_add_co_ci_u32_e64 v3, null, v26, v3, vcc_lo
	s_and_saveexec_b32 s14, s0
	s_cbranch_execz .LBB3_94
; %bb.93:                               ;   in Loop: Header=BB3_37 Depth=1
	s_wait_alu 0xfffe
	v_mov_b32_e32 v5, s1
	global_store_b128 v[2:3], v[5:8], off offset:8
.LBB3_94:                               ;   in Loop: Header=BB3_37 Depth=1
	s_wait_alu 0xfffe
	s_or_b32 exec_lo, exec_lo, s14
	v_cmp_gt_u64_e64 s1, s[6:7], 56
	v_lshlrev_b64_e32 v[29:30], 12, v[29:30]
	v_and_b32_e32 v5, 0xffffff1f, v9
	s_and_b32 s1, s1, exec_lo
	s_delay_alu instid0(VALU_DEP_2)
	v_add_co_u32 v27, vcc_lo, v27, v29
	s_cselect_b32 s1, 0, 2
	s_wait_alu 0xfffd
	v_add_co_ci_u32_e64 v28, null, v28, v30, vcc_lo
	s_wait_alu 0xfffe
	v_or_b32_e32 v5, s1, v5
	s_lshl_b32 s14, s10, 2
	s_wait_alu 0xfffe
	s_add_co_i32 s1, s14, 28
	v_readfirstlane_b32 s14, v27
	v_readfirstlane_b32 s15, v28
	s_wait_alu 0xfffe
	v_and_or_b32 v9, 0x1e0, s1, v5
	s_clause 0x3
	global_store_b128 v31, v[9:12], s[14:15]
	global_store_b128 v31, v[13:16], s[14:15] offset:16
	global_store_b128 v31, v[17:20], s[14:15] offset:32
	;; [unrolled: 1-line block ×3, first 2 shown]
	s_and_saveexec_b32 s1, s0
	s_cbranch_execz .LBB3_102
; %bb.95:                               ;   in Loop: Header=BB3_37 Depth=1
	s_clause 0x1
	global_load_b64 v[17:18], v6, s[2:3] offset:32 scope:SCOPE_SYS
	global_load_b64 v[9:10], v6, s[2:3] offset:40
	v_mov_b32_e32 v15, s12
	s_mov_b32 s14, exec_lo
	s_wait_loadcnt 0x0
	v_dual_mov_b32 v16, s13 :: v_dual_and_b32 v5, s13, v10
	v_and_b32_e32 v9, s12, v9
	s_delay_alu instid0(VALU_DEP_2) | instskip(NEXT) | instid1(VALU_DEP_2)
	v_mul_lo_u32 v5, 24, v5
	v_mul_lo_u32 v10, 0, v9
	v_mul_hi_u32 v11, 24, v9
	v_mul_lo_u32 v9, 24, v9
	s_delay_alu instid0(VALU_DEP_3) | instskip(NEXT) | instid1(VALU_DEP_2)
	v_add_nc_u32_e32 v5, v5, v10
	v_add_co_u32 v13, vcc_lo, v25, v9
	s_delay_alu instid0(VALU_DEP_2) | instskip(SKIP_1) | instid1(VALU_DEP_1)
	v_add_nc_u32_e32 v5, v5, v11
	s_wait_alu 0xfffd
	v_add_co_ci_u32_e64 v14, null, v26, v5, vcc_lo
	global_store_b64 v[13:14], v[17:18], off
	global_wb scope:SCOPE_SYS
	s_wait_storecnt 0x0
	global_atomic_cmpswap_b64 v[11:12], v6, v[15:18], s[2:3] offset:32 th:TH_ATOMIC_RETURN scope:SCOPE_SYS
	s_wait_loadcnt 0x0
	v_cmpx_ne_u64_e64 v[11:12], v[17:18]
	s_cbranch_execz .LBB3_98
; %bb.96:                               ;   in Loop: Header=BB3_37 Depth=1
	s_mov_b32 s15, 0
.LBB3_97:                               ;   Parent Loop BB3_37 Depth=1
                                        ; =>  This Inner Loop Header: Depth=2
	v_dual_mov_b32 v9, s12 :: v_dual_mov_b32 v10, s13
	s_sleep 1
	global_store_b64 v[13:14], v[11:12], off
	global_wb scope:SCOPE_SYS
	s_wait_storecnt 0x0
	global_atomic_cmpswap_b64 v[9:10], v6, v[9:12], s[2:3] offset:32 th:TH_ATOMIC_RETURN scope:SCOPE_SYS
	s_wait_loadcnt 0x0
	v_cmp_eq_u64_e32 vcc_lo, v[9:10], v[11:12]
	v_dual_mov_b32 v12, v10 :: v_dual_mov_b32 v11, v9
	s_wait_alu 0xfffe
	s_or_b32 s15, vcc_lo, s15
	s_wait_alu 0xfffe
	s_and_not1_b32 exec_lo, exec_lo, s15
	s_cbranch_execnz .LBB3_97
.LBB3_98:                               ;   in Loop: Header=BB3_37 Depth=1
	s_wait_alu 0xfffe
	s_or_b32 exec_lo, exec_lo, s14
	global_load_b64 v[9:10], v6, s[2:3] offset:16
	s_mov_b32 s15, exec_lo
	s_mov_b32 s14, exec_lo
	s_wait_alu 0xfffe
	v_mbcnt_lo_u32_b32 v5, s15, 0
	s_delay_alu instid0(VALU_DEP_1)
	v_cmpx_eq_u32_e32 0, v5
	s_cbranch_execz .LBB3_100
; %bb.99:                               ;   in Loop: Header=BB3_37 Depth=1
	s_bcnt1_i32_b32 s15, s15
	s_wait_alu 0xfffe
	v_mov_b32_e32 v5, s15
	global_wb scope:SCOPE_SYS
	s_wait_loadcnt 0x0
	s_wait_storecnt 0x0
	global_atomic_add_u64 v[9:10], v[5:6], off offset:8 scope:SCOPE_SYS
.LBB3_100:                              ;   in Loop: Header=BB3_37 Depth=1
	s_or_b32 exec_lo, exec_lo, s14
	s_wait_loadcnt 0x0
	global_load_b64 v[11:12], v[9:10], off offset:16
	s_wait_loadcnt 0x0
	v_cmp_eq_u64_e32 vcc_lo, 0, v[11:12]
	s_cbranch_vccnz .LBB3_102
; %bb.101:                              ;   in Loop: Header=BB3_37 Depth=1
	global_load_b32 v5, v[9:10], off offset:24
	s_wait_loadcnt 0x0
	v_readfirstlane_b32 s14, v5
	global_wb scope:SCOPE_SYS
	s_wait_storecnt 0x0
	global_store_b64 v[11:12], v[5:6], off scope:SCOPE_SYS
	s_and_b32 m0, s14, 0xffffff
	s_sendmsg sendmsg(MSG_INTERRUPT)
.LBB3_102:                              ;   in Loop: Header=BB3_37 Depth=1
	s_wait_alu 0xfffe
	s_or_b32 exec_lo, exec_lo, s1
	v_add_co_u32 v9, vcc_lo, v27, v31
	s_wait_alu 0xfffd
	v_add_co_ci_u32_e64 v10, null, 0, v28, vcc_lo
	s_branch .LBB3_106
.LBB3_103:                              ;   in Loop: Header=BB3_106 Depth=2
	s_wait_alu 0xfffe
	s_or_b32 exec_lo, exec_lo, s1
	s_delay_alu instid0(VALU_DEP_1)
	v_readfirstlane_b32 s1, v5
	s_cmp_eq_u32 s1, 0
	s_cbranch_scc1 .LBB3_105
; %bb.104:                              ;   in Loop: Header=BB3_106 Depth=2
	s_sleep 1
	s_cbranch_execnz .LBB3_106
	s_branch .LBB3_108
.LBB3_105:                              ;   in Loop: Header=BB3_37 Depth=1
	s_branch .LBB3_108
.LBB3_106:                              ;   Parent Loop BB3_37 Depth=1
                                        ; =>  This Inner Loop Header: Depth=2
	v_mov_b32_e32 v5, 1
	s_and_saveexec_b32 s1, s0
	s_cbranch_execz .LBB3_103
; %bb.107:                              ;   in Loop: Header=BB3_106 Depth=2
	global_load_b32 v5, v[2:3], off offset:20 scope:SCOPE_SYS
	s_wait_loadcnt 0x0
	global_inv scope:SCOPE_SYS
	v_and_b32_e32 v5, 1, v5
	s_branch .LBB3_103
.LBB3_108:                              ;   in Loop: Header=BB3_37 Depth=1
	global_load_b128 v[9:12], v[9:10], off
	s_and_saveexec_b32 s14, s0
	s_cbranch_execz .LBB3_36
; %bb.109:                              ;   in Loop: Header=BB3_37 Depth=1
	s_clause 0x1
	global_load_b64 v[2:3], v6, s[2:3] offset:40
	global_load_b64 v[15:16], v6, s[2:3] offset:24 scope:SCOPE_SYS
	s_wait_loadcnt 0x2
	global_load_b64 v[11:12], v6, s[2:3]
	s_wait_loadcnt 0x2
	v_readfirstlane_b32 s18, v2
	v_readfirstlane_b32 s19, v3
	s_add_nc_u64 s[0:1], s[18:19], 1
	s_wait_alu 0xfffe
	s_add_nc_u64 s[12:13], s[0:1], s[12:13]
	s_wait_alu 0xfffe
	s_cmp_eq_u64 s[12:13], 0
	s_cselect_b32 s1, s1, s13
	s_cselect_b32 s0, s0, s12
	s_wait_alu 0xfffe
	v_dual_mov_b32 v14, s1 :: v_dual_mov_b32 v13, s0
	s_and_b64 s[12:13], s[0:1], s[18:19]
	s_wait_alu 0xfffe
	s_mul_u64 s[12:13], s[12:13], 24
	s_wait_loadcnt 0x0
	s_wait_alu 0xfffe
	v_add_co_u32 v2, vcc_lo, v11, s12
	s_wait_alu 0xfffd
	v_add_co_ci_u32_e64 v3, null, s13, v12, vcc_lo
	global_store_b64 v[2:3], v[15:16], off
	global_wb scope:SCOPE_SYS
	s_wait_storecnt 0x0
	global_atomic_cmpswap_b64 v[13:14], v6, v[13:16], s[2:3] offset:24 th:TH_ATOMIC_RETURN scope:SCOPE_SYS
	s_wait_loadcnt 0x0
	v_cmp_ne_u64_e32 vcc_lo, v[13:14], v[15:16]
	s_and_b32 exec_lo, exec_lo, vcc_lo
	s_cbranch_execz .LBB3_36
; %bb.110:                              ;   in Loop: Header=BB3_37 Depth=1
	s_mov_b32 s12, 0
.LBB3_111:                              ;   Parent Loop BB3_37 Depth=1
                                        ; =>  This Inner Loop Header: Depth=2
	v_dual_mov_b32 v11, s0 :: v_dual_mov_b32 v12, s1
	s_sleep 1
	global_store_b64 v[2:3], v[13:14], off
	global_wb scope:SCOPE_SYS
	s_wait_storecnt 0x0
	global_atomic_cmpswap_b64 v[11:12], v6, v[11:14], s[2:3] offset:24 th:TH_ATOMIC_RETURN scope:SCOPE_SYS
	s_wait_loadcnt 0x0
	v_cmp_eq_u64_e32 vcc_lo, v[11:12], v[13:14]
	v_dual_mov_b32 v14, v12 :: v_dual_mov_b32 v13, v11
	s_wait_alu 0xfffe
	s_or_b32 s12, vcc_lo, s12
	s_wait_alu 0xfffe
	s_and_not1_b32 exec_lo, exec_lo, s12
	s_cbranch_execnz .LBB3_111
	s_branch .LBB3_36
.LBB3_112:
	v_mov_b32_e32 v54, v4
	s_branch .LBB3_141
.LBB3_113:
	v_mov_b32_e32 v54, v4
	s_cbranch_execz .LBB3_141
; %bb.114:
	v_readfirstlane_b32 s0, v32
	s_wait_loadcnt 0x0
	v_mov_b32_e32 v8, 0
	v_mov_b32_e32 v9, 0
	s_wait_alu 0xf1ff
	v_cmp_eq_u32_e64 s0, s0, v32
	s_and_saveexec_b32 s1, s0
	s_cbranch_execz .LBB3_120
; %bb.115:
	v_mov_b32_e32 v2, 0
	s_mov_b32 s4, exec_lo
	global_load_b64 v[5:6], v2, s[2:3] offset:24 scope:SCOPE_SYS
	s_wait_loadcnt 0x0
	global_inv scope:SCOPE_SYS
	s_clause 0x1
	global_load_b64 v[3:4], v2, s[2:3] offset:40
	global_load_b64 v[7:8], v2, s[2:3]
	s_wait_loadcnt 0x1
	v_and_b32_e32 v4, v4, v6
	v_and_b32_e32 v3, v3, v5
	s_delay_alu instid0(VALU_DEP_2) | instskip(NEXT) | instid1(VALU_DEP_2)
	v_mul_lo_u32 v4, 24, v4
	v_mul_lo_u32 v9, 0, v3
	v_mul_hi_u32 v10, 24, v3
	v_mul_lo_u32 v3, 24, v3
	s_delay_alu instid0(VALU_DEP_3) | instskip(SKIP_1) | instid1(VALU_DEP_2)
	v_add_nc_u32_e32 v4, v4, v9
	s_wait_loadcnt 0x0
	v_add_co_u32 v3, vcc_lo, v7, v3
	s_delay_alu instid0(VALU_DEP_2) | instskip(SKIP_1) | instid1(VALU_DEP_1)
	v_add_nc_u32_e32 v4, v4, v10
	s_wait_alu 0xfffd
	v_add_co_ci_u32_e64 v4, null, v8, v4, vcc_lo
	global_load_b64 v[3:4], v[3:4], off scope:SCOPE_SYS
	s_wait_loadcnt 0x0
	global_atomic_cmpswap_b64 v[8:9], v2, v[3:6], s[2:3] offset:24 th:TH_ATOMIC_RETURN scope:SCOPE_SYS
	s_wait_loadcnt 0x0
	global_inv scope:SCOPE_SYS
	v_cmpx_ne_u64_e64 v[8:9], v[5:6]
	s_cbranch_execz .LBB3_119
; %bb.116:
	s_mov_b32 s5, 0
.LBB3_117:                              ; =>This Inner Loop Header: Depth=1
	s_sleep 1
	s_clause 0x1
	global_load_b64 v[3:4], v2, s[2:3] offset:40
	global_load_b64 v[10:11], v2, s[2:3]
	v_dual_mov_b32 v5, v8 :: v_dual_mov_b32 v6, v9
	s_wait_loadcnt 0x1
	s_delay_alu instid0(VALU_DEP_1) | instskip(NEXT) | instid1(VALU_DEP_2)
	v_and_b32_e32 v3, v3, v5
	v_and_b32_e32 v4, v4, v6
	s_wait_loadcnt 0x0
	s_delay_alu instid0(VALU_DEP_2) | instskip(NEXT) | instid1(VALU_DEP_1)
	v_mad_co_u64_u32 v[7:8], null, v3, 24, v[10:11]
	v_mov_b32_e32 v3, v8
	s_delay_alu instid0(VALU_DEP_1) | instskip(NEXT) | instid1(VALU_DEP_1)
	v_mad_co_u64_u32 v[3:4], null, v4, 24, v[3:4]
	v_mov_b32_e32 v8, v3
	global_load_b64 v[3:4], v[7:8], off scope:SCOPE_SYS
	s_wait_loadcnt 0x0
	global_atomic_cmpswap_b64 v[8:9], v2, v[3:6], s[2:3] offset:24 th:TH_ATOMIC_RETURN scope:SCOPE_SYS
	s_wait_loadcnt 0x0
	global_inv scope:SCOPE_SYS
	v_cmp_eq_u64_e32 vcc_lo, v[8:9], v[5:6]
	s_wait_alu 0xfffe
	s_or_b32 s5, vcc_lo, s5
	s_wait_alu 0xfffe
	s_and_not1_b32 exec_lo, exec_lo, s5
	s_cbranch_execnz .LBB3_117
; %bb.118:
	s_or_b32 exec_lo, exec_lo, s5
.LBB3_119:
	s_wait_alu 0xfffe
	s_or_b32 exec_lo, exec_lo, s4
.LBB3_120:
	s_wait_alu 0xfffe
	s_or_b32 exec_lo, exec_lo, s1
	v_readfirstlane_b32 s5, v9
	v_mov_b32_e32 v2, 0
	v_readfirstlane_b32 s4, v8
	s_mov_b32 s1, exec_lo
	s_clause 0x1
	global_load_b64 v[10:11], v2, s[2:3] offset:40
	global_load_b128 v[4:7], v2, s[2:3]
	s_wait_loadcnt 0x1
	s_wait_alu 0xf1ff
	v_and_b32_e32 v11, s5, v11
	v_and_b32_e32 v10, s4, v10
	s_delay_alu instid0(VALU_DEP_2) | instskip(NEXT) | instid1(VALU_DEP_2)
	v_mul_lo_u32 v3, 24, v11
	v_mul_lo_u32 v8, 0, v10
	v_mul_hi_u32 v9, 24, v10
	v_mul_lo_u32 v12, 24, v10
	s_delay_alu instid0(VALU_DEP_3) | instskip(SKIP_1) | instid1(VALU_DEP_2)
	v_add_nc_u32_e32 v3, v3, v8
	s_wait_loadcnt 0x0
	v_add_co_u32 v8, vcc_lo, v4, v12
	s_delay_alu instid0(VALU_DEP_2) | instskip(SKIP_1) | instid1(VALU_DEP_1)
	v_add_nc_u32_e32 v3, v3, v9
	s_wait_alu 0xfffd
	v_add_co_ci_u32_e64 v9, null, v5, v3, vcc_lo
	s_and_saveexec_b32 s6, s0
	s_cbranch_execz .LBB3_122
; %bb.121:
	s_wait_alu 0xfffe
	v_dual_mov_b32 v12, s1 :: v_dual_mov_b32 v13, v2
	v_dual_mov_b32 v14, 2 :: v_dual_mov_b32 v15, 1
	global_store_b128 v[8:9], v[12:15], off offset:8
.LBB3_122:
	s_wait_alu 0xfffe
	s_or_b32 exec_lo, exec_lo, s6
	v_lshlrev_b64_e32 v[10:11], 12, v[10:11]
	s_mov_b32 s12, 0
	v_and_or_b32 v0, 0xffffff1d, v0, 34
	s_wait_alu 0xfffe
	s_mov_b32 s13, s12
	s_mov_b32 s14, s12
	;; [unrolled: 1-line block ×3, first 2 shown]
	v_add_co_u32 v6, vcc_lo, v6, v10
	s_wait_alu 0xfffd
	v_add_co_ci_u32_e64 v7, null, v7, v11, vcc_lo
	v_dual_mov_b32 v3, v2 :: v_dual_mov_b32 v10, s12
	s_delay_alu instid0(VALU_DEP_3) | instskip(NEXT) | instid1(VALU_DEP_3)
	v_readfirstlane_b32 s6, v6
	v_readfirstlane_b32 s7, v7
	s_wait_alu 0xfffe
	v_dual_mov_b32 v11, s13 :: v_dual_mov_b32 v12, s14
	v_mov_b32_e32 v13, s15
	s_clause 0x3
	global_store_b128 v31, v[0:3], s[6:7]
	global_store_b128 v31, v[10:13], s[6:7] offset:16
	global_store_b128 v31, v[10:13], s[6:7] offset:32
	;; [unrolled: 1-line block ×3, first 2 shown]
	s_and_saveexec_b32 s1, s0
	s_cbranch_execz .LBB3_130
; %bb.123:
	v_mov_b32_e32 v6, 0
	s_mov_b32 s6, exec_lo
	s_clause 0x1
	global_load_b64 v[12:13], v6, s[2:3] offset:32 scope:SCOPE_SYS
	global_load_b64 v[0:1], v6, s[2:3] offset:40
	v_dual_mov_b32 v11, s5 :: v_dual_mov_b32 v10, s4
	s_wait_loadcnt 0x0
	v_and_b32_e32 v1, s5, v1
	v_and_b32_e32 v0, s4, v0
	s_delay_alu instid0(VALU_DEP_2) | instskip(NEXT) | instid1(VALU_DEP_2)
	v_mul_lo_u32 v1, 24, v1
	v_mul_lo_u32 v2, 0, v0
	v_mul_hi_u32 v3, 24, v0
	v_mul_lo_u32 v0, 24, v0
	s_delay_alu instid0(VALU_DEP_3) | instskip(NEXT) | instid1(VALU_DEP_2)
	v_add_nc_u32_e32 v1, v1, v2
	v_add_co_u32 v4, vcc_lo, v4, v0
	s_delay_alu instid0(VALU_DEP_2) | instskip(SKIP_1) | instid1(VALU_DEP_1)
	v_add_nc_u32_e32 v1, v1, v3
	s_wait_alu 0xfffd
	v_add_co_ci_u32_e64 v5, null, v5, v1, vcc_lo
	global_store_b64 v[4:5], v[12:13], off
	global_wb scope:SCOPE_SYS
	s_wait_storecnt 0x0
	global_atomic_cmpswap_b64 v[2:3], v6, v[10:13], s[2:3] offset:32 th:TH_ATOMIC_RETURN scope:SCOPE_SYS
	s_wait_loadcnt 0x0
	v_cmpx_ne_u64_e64 v[2:3], v[12:13]
	s_cbranch_execz .LBB3_126
; %bb.124:
	s_mov_b32 s7, 0
.LBB3_125:                              ; =>This Inner Loop Header: Depth=1
	v_dual_mov_b32 v0, s4 :: v_dual_mov_b32 v1, s5
	s_sleep 1
	global_store_b64 v[4:5], v[2:3], off
	global_wb scope:SCOPE_SYS
	s_wait_storecnt 0x0
	global_atomic_cmpswap_b64 v[0:1], v6, v[0:3], s[2:3] offset:32 th:TH_ATOMIC_RETURN scope:SCOPE_SYS
	s_wait_loadcnt 0x0
	v_cmp_eq_u64_e32 vcc_lo, v[0:1], v[2:3]
	v_dual_mov_b32 v3, v1 :: v_dual_mov_b32 v2, v0
	s_wait_alu 0xfffe
	s_or_b32 s7, vcc_lo, s7
	s_wait_alu 0xfffe
	s_and_not1_b32 exec_lo, exec_lo, s7
	s_cbranch_execnz .LBB3_125
.LBB3_126:
	s_wait_alu 0xfffe
	s_or_b32 exec_lo, exec_lo, s6
	v_mov_b32_e32 v3, 0
	s_mov_b32 s7, exec_lo
	s_mov_b32 s6, exec_lo
	s_wait_alu 0xfffe
	v_mbcnt_lo_u32_b32 v2, s7, 0
	global_load_b64 v[0:1], v3, s[2:3] offset:16
	v_cmpx_eq_u32_e32 0, v2
	s_cbranch_execz .LBB3_128
; %bb.127:
	s_bcnt1_i32_b32 s7, s7
	s_wait_alu 0xfffe
	v_mov_b32_e32 v2, s7
	global_wb scope:SCOPE_SYS
	s_wait_loadcnt 0x0
	s_wait_storecnt 0x0
	global_atomic_add_u64 v[0:1], v[2:3], off offset:8 scope:SCOPE_SYS
.LBB3_128:
	s_or_b32 exec_lo, exec_lo, s6
	s_wait_loadcnt 0x0
	global_load_b64 v[2:3], v[0:1], off offset:16
	s_wait_loadcnt 0x0
	v_cmp_eq_u64_e32 vcc_lo, 0, v[2:3]
	s_cbranch_vccnz .LBB3_130
; %bb.129:
	global_load_b32 v0, v[0:1], off offset:24
	v_mov_b32_e32 v1, 0
	s_wait_loadcnt 0x0
	v_readfirstlane_b32 s6, v0
	global_wb scope:SCOPE_SYS
	s_wait_storecnt 0x0
	global_store_b64 v[2:3], v[0:1], off scope:SCOPE_SYS
	s_and_b32 m0, s6, 0xffffff
	s_sendmsg sendmsg(MSG_INTERRUPT)
.LBB3_130:
	s_wait_alu 0xfffe
	s_or_b32 exec_lo, exec_lo, s1
	s_branch .LBB3_134
.LBB3_131:                              ;   in Loop: Header=BB3_134 Depth=1
	s_wait_alu 0xfffe
	s_or_b32 exec_lo, exec_lo, s1
	s_delay_alu instid0(VALU_DEP_1)
	v_readfirstlane_b32 s1, v0
	s_cmp_eq_u32 s1, 0
	s_cbranch_scc1 .LBB3_133
; %bb.132:                              ;   in Loop: Header=BB3_134 Depth=1
	s_sleep 1
	s_cbranch_execnz .LBB3_134
	s_branch .LBB3_136
.LBB3_133:
	s_branch .LBB3_136
.LBB3_134:                              ; =>This Inner Loop Header: Depth=1
	v_mov_b32_e32 v0, 1
	s_and_saveexec_b32 s1, s0
	s_cbranch_execz .LBB3_131
; %bb.135:                              ;   in Loop: Header=BB3_134 Depth=1
	global_load_b32 v0, v[8:9], off offset:20 scope:SCOPE_SYS
	s_wait_loadcnt 0x0
	global_inv scope:SCOPE_SYS
	v_and_b32_e32 v0, 1, v0
	s_branch .LBB3_131
.LBB3_136:
	s_and_saveexec_b32 s6, s0
	s_cbranch_execz .LBB3_140
; %bb.137:
	v_mov_b32_e32 v6, 0
	s_clause 0x2
	global_load_b64 v[0:1], v6, s[2:3] offset:40
	global_load_b64 v[9:10], v6, s[2:3] offset:24 scope:SCOPE_SYS
	global_load_b64 v[2:3], v6, s[2:3]
	s_wait_loadcnt 0x2
	v_readfirstlane_b32 s10, v0
	v_readfirstlane_b32 s11, v1
	s_add_nc_u64 s[0:1], s[10:11], 1
	s_wait_alu 0xfffe
	s_add_nc_u64 s[4:5], s[0:1], s[4:5]
	s_wait_alu 0xfffe
	s_cmp_eq_u64 s[4:5], 0
	s_cselect_b32 s1, s1, s5
	s_cselect_b32 s0, s0, s4
	s_wait_alu 0xfffe
	v_mov_b32_e32 v8, s1
	s_and_b64 s[4:5], s[0:1], s[10:11]
	v_mov_b32_e32 v7, s0
	s_wait_alu 0xfffe
	s_mul_u64 s[4:5], s[4:5], 24
	s_wait_loadcnt 0x0
	s_wait_alu 0xfffe
	v_add_co_u32 v4, vcc_lo, v2, s4
	s_wait_alu 0xfffd
	v_add_co_ci_u32_e64 v5, null, s5, v3, vcc_lo
	global_store_b64 v[4:5], v[9:10], off
	global_wb scope:SCOPE_SYS
	s_wait_storecnt 0x0
	global_atomic_cmpswap_b64 v[2:3], v6, v[7:10], s[2:3] offset:24 th:TH_ATOMIC_RETURN scope:SCOPE_SYS
	s_wait_loadcnt 0x0
	v_cmp_ne_u64_e32 vcc_lo, v[2:3], v[9:10]
	s_and_b32 exec_lo, exec_lo, vcc_lo
	s_cbranch_execz .LBB3_140
; %bb.138:
	s_mov_b32 s4, 0
.LBB3_139:                              ; =>This Inner Loop Header: Depth=1
	v_dual_mov_b32 v0, s0 :: v_dual_mov_b32 v1, s1
	s_sleep 1
	global_store_b64 v[4:5], v[2:3], off
	global_wb scope:SCOPE_SYS
	s_wait_storecnt 0x0
	global_atomic_cmpswap_b64 v[0:1], v6, v[0:3], s[2:3] offset:24 th:TH_ATOMIC_RETURN scope:SCOPE_SYS
	s_wait_loadcnt 0x0
	v_cmp_eq_u64_e32 vcc_lo, v[0:1], v[2:3]
	v_dual_mov_b32 v3, v1 :: v_dual_mov_b32 v2, v0
	s_wait_alu 0xfffe
	s_or_b32 s4, vcc_lo, s4
	s_wait_alu 0xfffe
	s_and_not1_b32 exec_lo, exec_lo, s4
	s_cbranch_execnz .LBB3_139
.LBB3_140:
	s_wait_alu 0xfffe
	s_or_b32 exec_lo, exec_lo, s6
.LBB3_141:
	s_getpc_b64 s[0:1]
	s_wait_alu 0xfffe
	s_sext_i32_i16 s1, s1
	s_add_co_u32 s0, s0, .str.29@rel32@lo+12
	s_wait_alu 0xfffe
	s_add_co_ci_u32 s1, s1, .str.29@rel32@hi+24
	s_getpc_b64 s[2:3]
	s_wait_alu 0xfffe
	s_sext_i32_i16 s3, s3
	s_add_co_u32 s2, s2, .str.19@rel32@lo+12
	s_wait_alu 0xfffe
	s_add_co_ci_u32 s3, s3, .str.19@rel32@hi+24
	s_getpc_b64 s[4:5]
	s_wait_alu 0xfffe
	s_sext_i32_i16 s5, s5
	s_add_co_u32 s4, s4, __PRETTY_FUNCTION__._ZN7VecsMemIjLi8192EE5fetchEi@rel32@lo+12
	s_wait_alu 0xfffe
	s_add_co_ci_u32 s5, s5, __PRETTY_FUNCTION__._ZN7VecsMemIjLi8192EE5fetchEi@rel32@hi+24
	s_wait_loadcnt 0x0
	v_dual_mov_b32 v0, s0 :: v_dual_mov_b32 v1, s1
	v_dual_mov_b32 v2, s2 :: v_dual_mov_b32 v3, s3
	;; [unrolled: 1-line block ×3, first 2 shown]
	s_wait_alu 0xfffe
	v_mov_b32_e32 v6, s5
	s_getpc_b64 s[6:7]
	s_wait_alu 0xfffe
	s_sext_i32_i16 s7, s7
	s_add_co_u32 s6, s6, __assert_fail@rel32@lo+12
	s_wait_alu 0xfffe
	s_add_co_ci_u32 s7, s7, __assert_fail@rel32@hi+24
	s_mov_b64 s[18:19], s[8:9]
	s_wait_alu 0xfffe
	s_swappc_b64 s[30:31], s[6:7]
	v_mov_b32_e32 v4, v54
	s_mov_b64 s[8:9], s[18:19]
	s_mov_b32 s0, exec_lo
.LBB3_142:
	s_wait_alu 0xfffe
	s_or_b32 exec_lo, exec_lo, s21
	s_delay_alu instid0(SALU_CYCLE_1)
	s_and_b32 s64, s0, exec_lo
	s_or_not1_b32 s0, s20, exec_lo
	s_or_b32 exec_lo, exec_lo, s17
	s_wait_alu 0xfffe
	s_and_saveexec_b32 s65, s0
	s_cbranch_execz .LBB3_2
.LBB3_143:
	s_mov_b32 s17, s64
	s_mov_b32 s0, exec_lo
	v_cmpx_ne_u64_e32 0, v[41:42]
	s_wait_alu 0xfffe
	s_xor_b32 s66, exec_lo, s0
	s_cbranch_execz .LBB3_645
; %bb.144:
	v_dual_mov_b32 v1, 0 :: v_dual_mov_b32 v0, v73
	s_mov_b32 s1, 0
                                        ; implicit-def: $sgpr0
                                        ; implicit-def: $sgpr3
                                        ; implicit-def: $sgpr2
	s_branch .LBB3_146
.LBB3_145:                              ;   in Loop: Header=BB3_146 Depth=1
	s_wait_alu 0xfffe
	s_or_b32 exec_lo, exec_lo, s4
	s_xor_b32 s4, s2, -1
	s_and_b32 s5, exec_lo, s3
	s_wait_alu 0xfffe
	s_or_b32 s1, s5, s1
	s_and_not1_b32 s0, s0, exec_lo
	s_and_b32 s4, s4, exec_lo
	s_wait_alu 0xfffe
	s_or_b32 s0, s0, s4
	s_and_not1_b32 exec_lo, exec_lo, s1
	s_cbranch_execz .LBB3_148
.LBB3_146:                              ; =>This Inner Loop Header: Depth=1
	s_or_b32 s2, s2, exec_lo
	s_or_b32 s3, s3, exec_lo
	s_mov_b32 s4, exec_lo
	v_cmpx_lt_i32_e32 0, v0
	s_cbranch_execz .LBB3_145
; %bb.147:                              ;   in Loop: Header=BB3_146 Depth=1
	v_add_nc_u32_e32 v0, -1, v0
	s_wait_alu 0xfffe
	s_and_not1_b32 s3, s3, exec_lo
	s_and_not1_b32 s2, s2, exec_lo
	s_delay_alu instid0(VALU_DEP_1) | instskip(NEXT) | instid1(VALU_DEP_1)
	v_lshlrev_b64_e32 v[2:3], 2, v[0:1]
	v_add_co_u32 v2, vcc_lo, v58, v2
	s_wait_alu 0xfffd
	s_delay_alu instid0(VALU_DEP_2)
	v_add_co_ci_u32_e64 v3, null, v59, v3, vcc_lo
	flat_load_b32 v2, v[2:3]
	s_wait_loadcnt_dscnt 0x0
	v_cmp_ne_u32_e32 vcc_lo, 0, v2
	s_and_b32 s5, vcc_lo, exec_lo
	s_wait_alu 0xfffe
	s_or_b32 s3, s3, s5
	s_branch .LBB3_145
.LBB3_148:
	s_or_b32 exec_lo, exec_lo, s1
	s_mov_b32 s2, 0
	s_mov_b32 s1, s64
	s_wait_alu 0xfffe
	s_and_saveexec_b32 s3, s0
	s_wait_alu 0xfffe
	s_xor_b32 s67, exec_lo, s3
	s_cbranch_execz .LBB3_639
; %bb.149:
	v_dual_mov_b32 v1, 0 :: v_dual_mov_b32 v0, v73
	s_mov_b32 s1, 0
                                        ; implicit-def: $sgpr0
                                        ; implicit-def: $sgpr3
                                        ; implicit-def: $sgpr2
	s_branch .LBB3_151
.LBB3_150:                              ;   in Loop: Header=BB3_151 Depth=1
	s_wait_alu 0xfffe
	s_or_b32 exec_lo, exec_lo, s4
	s_xor_b32 s4, s2, -1
	s_and_b32 s5, exec_lo, s3
	s_wait_alu 0xfffe
	s_or_b32 s1, s5, s1
	s_and_not1_b32 s0, s0, exec_lo
	s_and_b32 s4, s4, exec_lo
	s_wait_alu 0xfffe
	s_or_b32 s0, s0, s4
	s_and_not1_b32 exec_lo, exec_lo, s1
	s_cbranch_execz .LBB3_153
.LBB3_151:                              ; =>This Inner Loop Header: Depth=1
	s_or_b32 s2, s2, exec_lo
	s_or_b32 s3, s3, exec_lo
	s_mov_b32 s4, exec_lo
	v_cmpx_lt_i32_e32 0, v0
	s_cbranch_execz .LBB3_150
; %bb.152:                              ;   in Loop: Header=BB3_151 Depth=1
	v_add_nc_u32_e32 v0, -1, v0
	s_wait_alu 0xfffe
	s_and_not1_b32 s3, s3, exec_lo
	s_and_not1_b32 s2, s2, exec_lo
	s_delay_alu instid0(VALU_DEP_1) | instskip(NEXT) | instid1(VALU_DEP_1)
	v_lshlrev_b64_e32 v[2:3], 2, v[0:1]
	v_add_co_u32 v2, vcc_lo, v56, v2
	s_wait_alu 0xfffd
	s_delay_alu instid0(VALU_DEP_2)
	v_add_co_ci_u32_e64 v3, null, v57, v3, vcc_lo
	flat_load_b32 v2, v[2:3]
	s_wait_loadcnt_dscnt 0x0
	v_cmp_ne_u32_e32 vcc_lo, -1, v2
	s_and_b32 s5, vcc_lo, exec_lo
	s_wait_alu 0xfffe
	s_or_b32 s3, s3, s5
	s_branch .LBB3_150
.LBB3_153:
	s_or_b32 exec_lo, exec_lo, s1
	s_mov_b32 s17, 0
	s_mov_b32 s20, s64
	s_wait_alu 0xfffe
	s_and_saveexec_b32 s1, s0
	s_wait_alu 0xfffe
	s_xor_b32 s68, exec_lo, s1
	s_cbranch_execz .LBB3_495
; %bb.154:
	s_mov_b32 s0, -1
	s_mov_b32 s2, exec_lo
                                        ; implicit-def: $sgpr69
                                        ; implicit-def: $vgpr54
	v_cmpx_lt_i32_e32 0, v4
	s_cbranch_execnz .LBB3_157
; %bb.155:
	s_wait_alu 0xfffe
	s_or_b32 exec_lo, exec_lo, s2
	s_mov_b32 s70, s64
	s_and_saveexec_b32 s20, s0
	s_cbranch_execnz .LBB3_290
.LBB3_156:
	s_wait_alu 0xfffe
	s_or_b32 exec_lo, exec_lo, s20
	s_mov_b32 s0, 0
	s_and_saveexec_b32 s71, s17
	s_cbranch_execnz .LBB3_291
	s_branch .LBB3_494
.LBB3_157:
	v_cmp_lt_i32_e64 s69, 0, v73
	s_mov_b32 s3, 0
                                        ; implicit-def: $sgpr4
	s_branch .LBB3_160
.LBB3_158:                              ;   in Loop: Header=BB3_160 Depth=1
	s_wait_alu 0xfffe
	s_or_b32 exec_lo, exec_lo, s6
	s_delay_alu instid0(SALU_CYCLE_1)
	s_or_not1_b32 s6, s1, exec_lo
	s_or_not1_b32 s0, s0, exec_lo
.LBB3_159:                              ;   in Loop: Header=BB3_160 Depth=1
	s_wait_alu 0xfffe
	s_or_b32 exec_lo, exec_lo, s5
	s_xor_b32 s1, s6, -1
	s_and_b32 s0, exec_lo, s0
	v_add_nc_u32_e32 v4, -1, v4
	s_wait_alu 0xfffe
	s_or_b32 s3, s0, s3
	s_and_not1_b32 s0, s4, exec_lo
	s_and_b32 s1, s1, exec_lo
	s_wait_alu 0xfffe
	s_or_b32 s4, s0, s1
	s_and_not1_b32 exec_lo, exec_lo, s3
	s_cbranch_execz .LBB3_289
.LBB3_160:                              ; =>This Loop Header: Depth=1
                                        ;     Child Loop BB3_167 Depth 2
                                        ;       Child Loop BB3_170 Depth 3
                                        ;     Child Loop BB3_181 Depth 2
                                        ;     Child Loop BB3_190 Depth 2
	;; [unrolled: 1-line block ×10, first 2 shown]
                                        ;       Child Loop BB3_273 Depth 3
                                        ;     Child Loop BB3_283 Depth 2
	s_mov_b32 s1, 0
                                        ; implicit-def: $vgpr54
	s_mov_b32 s0, exec_lo
	v_cmpx_lt_i32_e32 2, v4
	s_wait_alu 0xfffe
	s_xor_b32 s5, exec_lo, s0
	s_cbranch_execz .LBB3_204
; %bb.161:                              ;   in Loop: Header=BB3_160 Depth=1
                                        ; implicit-def: $vgpr54
	s_mov_b32 s0, exec_lo
	v_cmpx_lt_i32_e32 3, v4
	s_wait_alu 0xfffe
	s_xor_b32 s6, exec_lo, s0
	s_cbranch_execz .LBB3_195
; %bb.162:                              ;   in Loop: Header=BB3_160 Depth=1
	;; [unrolled: 7-line block ×3, first 2 shown]
	s_mov_b32 s0, exec_lo
	v_cmpx_ne_u32_e32 5, v4
	s_wait_alu 0xfffe
	s_xor_b32 s10, exec_lo, s0
	s_cbranch_execz .LBB3_177
; %bb.164:                              ;   in Loop: Header=BB3_160 Depth=1
	s_mov_b32 s0, -1
	s_and_saveexec_b32 s11, s69
	s_cbranch_execz .LBB3_176
; %bb.165:                              ;   in Loop: Header=BB3_160 Depth=1
	v_add_nc_u32_e32 v5, -6, v4
	v_dual_mov_b32 v7, v58 :: v_dual_mov_b32 v8, v59
	s_mov_b32 s12, 0
                                        ; implicit-def: $sgpr13
	s_delay_alu instid0(VALU_DEP_2) | instskip(SKIP_2) | instid1(VALU_DEP_3)
	v_lshlrev_b32_e64 v2, v5, 1
	v_lshlrev_b32_e64 v0, v5, 2
	v_cmp_ne_u32_e32 vcc_lo, 31, v5
	v_ashrrev_i32_e32 v3, 31, v2
	s_delay_alu instid0(VALU_DEP_3) | instskip(SKIP_1) | instid1(VALU_DEP_3)
	v_ashrrev_i32_e32 v1, 31, v0
	v_max_i32_e32 v11, 1, v2
	v_lshlrev_b64_e32 v[2:3], 2, v[2:3]
	s_delay_alu instid0(VALU_DEP_3)
	v_lshlrev_b64_e32 v[5:6], 2, v[0:1]
	v_mov_b32_e32 v1, 0
	s_branch .LBB3_167
.LBB3_166:                              ;   in Loop: Header=BB3_167 Depth=2
	s_wait_alu 0xfffe
	s_or_b32 exec_lo, exec_lo, s15
	s_xor_b32 s0, s1, -1
	s_and_b32 s1, exec_lo, s14
	s_wait_alu 0xfffe
	s_or_b32 s12, s1, s12
	s_and_not1_b32 s1, s13, exec_lo
	s_and_b32 s0, s0, exec_lo
	s_wait_alu 0xfffe
	s_or_b32 s13, s1, s0
	s_and_not1_b32 exec_lo, exec_lo, s12
	s_cbranch_execz .LBB3_175
.LBB3_167:                              ;   Parent Loop BB3_160 Depth=1
                                        ; =>  This Loop Header: Depth=2
                                        ;       Child Loop BB3_170 Depth 3
	s_mov_b32 s14, -1
	s_mov_b32 s0, -1
	s_and_saveexec_b32 s15, vcc_lo
	s_cbranch_execz .LBB3_173
; %bb.168:                              ;   in Loop: Header=BB3_167 Depth=2
	v_dual_mov_b32 v10, v8 :: v_dual_mov_b32 v9, v7
	v_mov_b32_e32 v12, v11
	s_mov_b32 s16, 0
                                        ; implicit-def: $sgpr17
                                        ; implicit-def: $sgpr19
                                        ; implicit-def: $sgpr18
	s_branch .LBB3_170
.LBB3_169:                              ;   in Loop: Header=BB3_170 Depth=3
	s_wait_alu 0xfffe
	s_or_b32 exec_lo, exec_lo, s20
	s_xor_b32 s0, s18, -1
	s_and_b32 s1, exec_lo, s19
	s_wait_alu 0xfffe
	s_or_b32 s16, s1, s16
	s_and_not1_b32 s1, s17, exec_lo
	s_and_b32 s0, s0, exec_lo
	s_wait_alu 0xfffe
	s_or_b32 s17, s1, s0
	s_and_not1_b32 exec_lo, exec_lo, s16
	s_cbranch_execz .LBB3_172
.LBB3_170:                              ;   Parent Loop BB3_160 Depth=1
                                        ;     Parent Loop BB3_167 Depth=2
                                        ; =>    This Inner Loop Header: Depth=3
	s_delay_alu instid0(VALU_DEP_2)
	v_add_co_u32 v13, s0, v9, v2
	s_wait_alu 0xf1fe
	v_add_co_ci_u32_e64 v14, null, v10, v3, s0
	s_or_b32 s18, s18, exec_lo
	s_or_b32 s19, s19, exec_lo
	s_clause 0x1
	flat_load_b32 v15, v[9:10]
	flat_load_b32 v13, v[13:14]
	s_mov_b32 s20, exec_lo
	s_wait_loadcnt_dscnt 0x0
	v_cmpx_eq_u32_e64 v15, v13
	s_cbranch_execz .LBB3_169
; %bb.171:                              ;   in Loop: Header=BB3_170 Depth=3
	v_add_nc_u32_e32 v12, -1, v12
	v_add_co_u32 v9, s1, v9, 4
	s_wait_alu 0xf1ff
	v_add_co_ci_u32_e64 v10, null, 0, v10, s1
	s_delay_alu instid0(VALU_DEP_3)
	v_cmp_eq_u32_e64 s0, 0, v12
	s_wait_alu 0xfffe
	s_and_not1_b32 s1, s19, exec_lo
	s_and_not1_b32 s18, s18, exec_lo
	s_and_b32 s0, s0, exec_lo
	s_wait_alu 0xfffe
	s_or_b32 s19, s1, s0
	s_branch .LBB3_169
.LBB3_172:                              ;   in Loop: Header=BB3_167 Depth=2
	s_or_b32 exec_lo, exec_lo, s16
	s_wait_alu 0xfffe
	s_or_not1_b32 s0, s17, exec_lo
.LBB3_173:                              ;   in Loop: Header=BB3_167 Depth=2
	s_wait_alu 0xfffe
	s_or_b32 exec_lo, exec_lo, s15
	s_mov_b32 s1, -1
	s_and_saveexec_b32 s15, s0
	s_cbranch_execz .LBB3_166
; %bb.174:                              ;   in Loop: Header=BB3_167 Depth=2
	v_add_nc_u32_e32 v1, v1, v0
	v_add_co_u32 v7, s1, v7, v5
	s_wait_alu 0xf1fe
	v_add_co_ci_u32_e64 v8, null, v8, v6, s1
	s_delay_alu instid0(VALU_DEP_3)
	v_cmp_ge_i32_e64 s0, v1, v73
	s_xor_b32 s1, exec_lo, -1
	s_or_not1_b32 s14, s0, exec_lo
	s_branch .LBB3_166
.LBB3_175:                              ;   in Loop: Header=BB3_160 Depth=1
	s_or_b32 exec_lo, exec_lo, s12
	s_wait_alu 0xfffe
	s_or_not1_b32 s0, s13, exec_lo
.LBB3_176:                              ;   in Loop: Header=BB3_160 Depth=1
	s_wait_alu 0xfffe
	s_or_b32 exec_lo, exec_lo, s11
	s_delay_alu instid0(SALU_CYCLE_1)
	s_and_b32 s1, s0, exec_lo
.LBB3_177:                              ;   in Loop: Header=BB3_160 Depth=1
	s_wait_alu 0xfffe
	s_or_saveexec_b32 s10, s10
	v_mov_b32_e32 v54, v4
	s_wait_alu 0xfffe
	s_xor_b32 exec_lo, exec_lo, s10
	s_cbranch_execz .LBB3_185
; %bb.178:                              ;   in Loop: Header=BB3_160 Depth=1
	s_mov_b32 s0, -1
	s_and_saveexec_b32 s11, s69
	s_cbranch_execz .LBB3_184
; %bb.179:                              ;   in Loop: Header=BB3_160 Depth=1
	v_dual_mov_b32 v0, v58 :: v_dual_mov_b32 v1, v59
	v_mov_b32_e32 v2, v73
	s_mov_b32 s12, 0
                                        ; implicit-def: $sgpr13
                                        ; implicit-def: $sgpr15
                                        ; implicit-def: $sgpr14
	s_branch .LBB3_181
.LBB3_180:                              ;   in Loop: Header=BB3_181 Depth=2
	s_wait_alu 0xfffe
	s_or_b32 exec_lo, exec_lo, s16
	s_xor_b32 s0, s14, -1
	s_and_b32 s16, exec_lo, s15
	s_wait_alu 0xfffe
	s_or_b32 s12, s16, s12
	s_and_not1_b32 s13, s13, exec_lo
	s_and_b32 s0, s0, exec_lo
	s_wait_alu 0xfffe
	s_or_b32 s13, s13, s0
	s_and_not1_b32 exec_lo, exec_lo, s12
	s_cbranch_execz .LBB3_183
.LBB3_181:                              ;   Parent Loop BB3_160 Depth=1
                                        ; =>  This Inner Loop Header: Depth=2
	flat_load_b32 v3, v[0:1]
	s_or_b32 s14, s14, exec_lo
	s_or_b32 s15, s15, exec_lo
	s_mov_b32 s16, exec_lo
	s_wait_loadcnt_dscnt 0x0
	v_and_b32_e32 v5, 0xffff, v3
	v_lshrrev_b32_e32 v3, 16, v3
	s_delay_alu instid0(VALU_DEP_1)
	v_cmpx_eq_u32_e64 v5, v3
	s_cbranch_execz .LBB3_180
; %bb.182:                              ;   in Loop: Header=BB3_181 Depth=2
	v_add_nc_u32_e32 v2, -1, v2
	v_add_co_u32 v0, s0, v0, 4
	s_wait_alu 0xf1fe
	v_add_co_ci_u32_e64 v1, null, 0, v1, s0
	s_delay_alu instid0(VALU_DEP_3)
	v_cmp_eq_u32_e32 vcc_lo, 0, v2
	s_and_not1_b32 s0, s15, exec_lo
	s_and_not1_b32 s14, s14, exec_lo
	s_and_b32 s15, vcc_lo, exec_lo
	s_wait_alu 0xfffe
	s_or_b32 s15, s0, s15
	s_branch .LBB3_180
.LBB3_183:                              ;   in Loop: Header=BB3_160 Depth=1
	s_or_b32 exec_lo, exec_lo, s12
	s_wait_alu 0xfffe
	s_or_not1_b32 s0, s13, exec_lo
.LBB3_184:                              ;   in Loop: Header=BB3_160 Depth=1
	s_wait_alu 0xfffe
	s_or_b32 exec_lo, exec_lo, s11
	v_mov_b32_e32 v54, 5
	s_and_not1_b32 s1, s1, exec_lo
	s_and_b32 s0, s0, exec_lo
	s_wait_alu 0xfffe
	s_or_b32 s1, s1, s0
.LBB3_185:                              ;   in Loop: Header=BB3_160 Depth=1
	s_or_b32 exec_lo, exec_lo, s10
	s_wait_alu 0xfffe
	s_and_b32 s1, s1, exec_lo
.LBB3_186:                              ;   in Loop: Header=BB3_160 Depth=1
	s_wait_alu 0xfffe
	s_and_not1_saveexec_b32 s7, s7
	s_cbranch_execz .LBB3_194
; %bb.187:                              ;   in Loop: Header=BB3_160 Depth=1
	s_mov_b32 s0, -1
	s_and_saveexec_b32 s10, s69
	s_cbranch_execz .LBB3_193
; %bb.188:                              ;   in Loop: Header=BB3_160 Depth=1
	v_dual_mov_b32 v0, v58 :: v_dual_mov_b32 v1, v59
	v_mov_b32_e32 v2, v73
	s_mov_b32 s11, 0
                                        ; implicit-def: $sgpr12
                                        ; implicit-def: $sgpr14
                                        ; implicit-def: $sgpr13
	s_branch .LBB3_190
.LBB3_189:                              ;   in Loop: Header=BB3_190 Depth=2
	s_wait_alu 0xfffe
	s_or_b32 exec_lo, exec_lo, s15
	s_xor_b32 s0, s13, -1
	s_and_b32 s15, exec_lo, s14
	s_wait_alu 0xfffe
	s_or_b32 s11, s15, s11
	s_and_not1_b32 s12, s12, exec_lo
	s_and_b32 s0, s0, exec_lo
	s_wait_alu 0xfffe
	s_or_b32 s12, s12, s0
	s_and_not1_b32 exec_lo, exec_lo, s11
	s_cbranch_execz .LBB3_192
.LBB3_190:                              ;   Parent Loop BB3_160 Depth=1
                                        ; =>  This Inner Loop Header: Depth=2
	flat_load_b32 v3, v[0:1]
	s_or_b32 s13, s13, exec_lo
	s_or_b32 s14, s14, exec_lo
	s_mov_b32 s15, exec_lo
	s_wait_loadcnt_dscnt 0x0
	v_lshrrev_b32_e32 v5, 8, v3
	s_delay_alu instid0(VALU_DEP_1) | instskip(NEXT) | instid1(VALU_DEP_1)
	v_xor_b32_e32 v3, v5, v3
	v_and_b32_e32 v3, 0xff00ff, v3
	s_delay_alu instid0(VALU_DEP_1)
	v_cmpx_eq_u32_e32 0, v3
	s_cbranch_execz .LBB3_189
; %bb.191:                              ;   in Loop: Header=BB3_190 Depth=2
	v_add_nc_u32_e32 v2, -1, v2
	v_add_co_u32 v0, s0, v0, 4
	s_wait_alu 0xf1fe
	v_add_co_ci_u32_e64 v1, null, 0, v1, s0
	s_delay_alu instid0(VALU_DEP_3)
	v_cmp_eq_u32_e32 vcc_lo, 0, v2
	s_and_not1_b32 s0, s14, exec_lo
	s_and_not1_b32 s13, s13, exec_lo
	s_and_b32 s14, vcc_lo, exec_lo
	s_wait_alu 0xfffe
	s_or_b32 s14, s0, s14
	s_branch .LBB3_189
.LBB3_192:                              ;   in Loop: Header=BB3_160 Depth=1
	s_or_b32 exec_lo, exec_lo, s11
	s_wait_alu 0xfffe
	s_or_not1_b32 s0, s12, exec_lo
.LBB3_193:                              ;   in Loop: Header=BB3_160 Depth=1
	s_wait_alu 0xfffe
	s_or_b32 exec_lo, exec_lo, s10
	v_mov_b32_e32 v54, 4
	s_and_not1_b32 s1, s1, exec_lo
	s_and_b32 s0, s0, exec_lo
	s_wait_alu 0xfffe
	s_or_b32 s1, s1, s0
.LBB3_194:                              ;   in Loop: Header=BB3_160 Depth=1
	s_wait_alu 0xfffe
	s_or_b32 exec_lo, exec_lo, s7
	s_delay_alu instid0(SALU_CYCLE_1)
	s_and_b32 s1, s1, exec_lo
.LBB3_195:                              ;   in Loop: Header=BB3_160 Depth=1
	s_wait_alu 0xfffe
	s_and_not1_saveexec_b32 s6, s6
	s_cbranch_execz .LBB3_203
; %bb.196:                              ;   in Loop: Header=BB3_160 Depth=1
	s_mov_b32 s0, -1
	s_and_saveexec_b32 s7, s69
	s_cbranch_execz .LBB3_202
; %bb.197:                              ;   in Loop: Header=BB3_160 Depth=1
	v_dual_mov_b32 v0, v58 :: v_dual_mov_b32 v1, v59
	v_mov_b32_e32 v2, v73
	s_mov_b32 s10, 0
                                        ; implicit-def: $sgpr11
                                        ; implicit-def: $sgpr13
                                        ; implicit-def: $sgpr12
	s_branch .LBB3_199
.LBB3_198:                              ;   in Loop: Header=BB3_199 Depth=2
	s_wait_alu 0xfffe
	s_or_b32 exec_lo, exec_lo, s14
	s_xor_b32 s0, s12, -1
	s_and_b32 s14, exec_lo, s13
	s_wait_alu 0xfffe
	s_or_b32 s10, s14, s10
	s_and_not1_b32 s11, s11, exec_lo
	s_and_b32 s0, s0, exec_lo
	s_wait_alu 0xfffe
	s_or_b32 s11, s11, s0
	s_and_not1_b32 exec_lo, exec_lo, s10
	s_cbranch_execz .LBB3_201
.LBB3_199:                              ;   Parent Loop BB3_160 Depth=1
                                        ; =>  This Inner Loop Header: Depth=2
	flat_load_b32 v3, v[0:1]
	s_or_b32 s12, s12, exec_lo
	s_or_b32 s13, s13, exec_lo
	s_mov_b32 s14, exec_lo
	s_wait_loadcnt_dscnt 0x0
	v_lshrrev_b32_e32 v5, 4, v3
	s_delay_alu instid0(VALU_DEP_1) | instskip(NEXT) | instid1(VALU_DEP_1)
	v_xor_b32_e32 v3, v5, v3
	v_and_b32_e32 v3, 0xf0f0f0f, v3
	s_delay_alu instid0(VALU_DEP_1)
	v_cmpx_eq_u32_e32 0, v3
	s_cbranch_execz .LBB3_198
; %bb.200:                              ;   in Loop: Header=BB3_199 Depth=2
	v_add_nc_u32_e32 v2, -1, v2
	v_add_co_u32 v0, s0, v0, 4
	s_wait_alu 0xf1fe
	v_add_co_ci_u32_e64 v1, null, 0, v1, s0
	s_delay_alu instid0(VALU_DEP_3)
	v_cmp_eq_u32_e32 vcc_lo, 0, v2
	s_and_not1_b32 s0, s13, exec_lo
	s_and_not1_b32 s12, s12, exec_lo
	s_and_b32 s13, vcc_lo, exec_lo
	s_wait_alu 0xfffe
	s_or_b32 s13, s0, s13
	s_branch .LBB3_198
.LBB3_201:                              ;   in Loop: Header=BB3_160 Depth=1
	s_or_b32 exec_lo, exec_lo, s10
	s_wait_alu 0xfffe
	s_or_not1_b32 s0, s11, exec_lo
.LBB3_202:                              ;   in Loop: Header=BB3_160 Depth=1
	s_wait_alu 0xfffe
	s_or_b32 exec_lo, exec_lo, s7
	v_mov_b32_e32 v54, 3
	s_and_not1_b32 s1, s1, exec_lo
	s_and_b32 s0, s0, exec_lo
	s_wait_alu 0xfffe
	s_or_b32 s1, s1, s0
.LBB3_203:                              ;   in Loop: Header=BB3_160 Depth=1
	s_wait_alu 0xfffe
	s_or_b32 exec_lo, exec_lo, s6
	s_delay_alu instid0(SALU_CYCLE_1)
	s_and_b32 s1, s1, exec_lo
.LBB3_204:                              ;   in Loop: Header=BB3_160 Depth=1
	s_wait_alu 0xfffe
	s_and_not1_saveexec_b32 s5, s5
	s_cbranch_execz .LBB3_222
; %bb.205:                              ;   in Loop: Header=BB3_160 Depth=1
	s_mov_b32 s6, s1
	s_mov_b32 s0, exec_lo
	v_cmpx_lt_i32_e32 1, v4
	s_wait_alu 0xfffe
	s_xor_b32 s7, exec_lo, s0
	s_cbranch_execz .LBB3_213
; %bb.206:                              ;   in Loop: Header=BB3_160 Depth=1
	s_mov_b32 s0, -1
	s_and_saveexec_b32 s6, s69
	s_cbranch_execz .LBB3_212
; %bb.207:                              ;   in Loop: Header=BB3_160 Depth=1
	v_dual_mov_b32 v0, v58 :: v_dual_mov_b32 v1, v59
	v_mov_b32_e32 v2, v73
	s_mov_b32 s10, 0
                                        ; implicit-def: $sgpr11
                                        ; implicit-def: $sgpr13
                                        ; implicit-def: $sgpr12
	s_branch .LBB3_209
.LBB3_208:                              ;   in Loop: Header=BB3_209 Depth=2
	s_wait_alu 0xfffe
	s_or_b32 exec_lo, exec_lo, s14
	s_xor_b32 s0, s12, -1
	s_and_b32 s14, exec_lo, s13
	s_wait_alu 0xfffe
	s_or_b32 s10, s14, s10
	s_and_not1_b32 s11, s11, exec_lo
	s_and_b32 s0, s0, exec_lo
	s_wait_alu 0xfffe
	s_or_b32 s11, s11, s0
	s_and_not1_b32 exec_lo, exec_lo, s10
	s_cbranch_execz .LBB3_211
.LBB3_209:                              ;   Parent Loop BB3_160 Depth=1
                                        ; =>  This Inner Loop Header: Depth=2
	flat_load_b32 v3, v[0:1]
	s_or_b32 s12, s12, exec_lo
	s_or_b32 s13, s13, exec_lo
	s_mov_b32 s14, exec_lo
	s_wait_loadcnt_dscnt 0x0
	v_lshrrev_b32_e32 v5, 2, v3
	s_delay_alu instid0(VALU_DEP_1) | instskip(NEXT) | instid1(VALU_DEP_1)
	v_xor_b32_e32 v3, v5, v3
	v_and_b32_e32 v3, 0x33333333, v3
	s_delay_alu instid0(VALU_DEP_1)
	v_cmpx_eq_u32_e32 0, v3
	s_cbranch_execz .LBB3_208
; %bb.210:                              ;   in Loop: Header=BB3_209 Depth=2
	v_add_nc_u32_e32 v2, -1, v2
	v_add_co_u32 v0, s0, v0, 4
	s_wait_alu 0xf1fe
	v_add_co_ci_u32_e64 v1, null, 0, v1, s0
	s_delay_alu instid0(VALU_DEP_3)
	v_cmp_eq_u32_e32 vcc_lo, 0, v2
	s_and_not1_b32 s0, s13, exec_lo
	s_and_not1_b32 s12, s12, exec_lo
	s_and_b32 s13, vcc_lo, exec_lo
	s_wait_alu 0xfffe
	s_or_b32 s13, s0, s13
	s_branch .LBB3_208
.LBB3_211:                              ;   in Loop: Header=BB3_160 Depth=1
	s_or_b32 exec_lo, exec_lo, s10
	s_wait_alu 0xfffe
	s_or_not1_b32 s0, s11, exec_lo
.LBB3_212:                              ;   in Loop: Header=BB3_160 Depth=1
	s_wait_alu 0xfffe
	s_or_b32 exec_lo, exec_lo, s6
	s_delay_alu instid0(SALU_CYCLE_1)
	s_and_not1_b32 s6, s1, exec_lo
	s_and_b32 s0, s0, exec_lo
	s_wait_alu 0xfffe
	s_or_b32 s6, s6, s0
.LBB3_213:                              ;   in Loop: Header=BB3_160 Depth=1
	s_wait_alu 0xfffe
	s_or_saveexec_b32 s7, s7
	v_mov_b32_e32 v54, 2
	s_wait_alu 0xfffe
	s_xor_b32 exec_lo, exec_lo, s7
	s_cbranch_execz .LBB3_221
; %bb.214:                              ;   in Loop: Header=BB3_160 Depth=1
	s_mov_b32 s0, -1
	s_and_saveexec_b32 s10, s69
	s_cbranch_execz .LBB3_220
; %bb.215:                              ;   in Loop: Header=BB3_160 Depth=1
	v_dual_mov_b32 v0, v58 :: v_dual_mov_b32 v1, v59
	v_mov_b32_e32 v2, v73
	s_mov_b32 s11, 0
                                        ; implicit-def: $sgpr12
                                        ; implicit-def: $sgpr14
                                        ; implicit-def: $sgpr13
	s_branch .LBB3_217
.LBB3_216:                              ;   in Loop: Header=BB3_217 Depth=2
	s_wait_alu 0xfffe
	s_or_b32 exec_lo, exec_lo, s15
	s_xor_b32 s0, s13, -1
	s_and_b32 s15, exec_lo, s14
	s_wait_alu 0xfffe
	s_or_b32 s11, s15, s11
	s_and_not1_b32 s12, s12, exec_lo
	s_and_b32 s0, s0, exec_lo
	s_wait_alu 0xfffe
	s_or_b32 s12, s12, s0
	s_and_not1_b32 exec_lo, exec_lo, s11
	s_cbranch_execz .LBB3_219
.LBB3_217:                              ;   Parent Loop BB3_160 Depth=1
                                        ; =>  This Inner Loop Header: Depth=2
	flat_load_b32 v3, v[0:1]
	s_or_b32 s13, s13, exec_lo
	s_or_b32 s14, s14, exec_lo
	s_mov_b32 s15, exec_lo
	s_wait_loadcnt_dscnt 0x0
	v_lshrrev_b32_e32 v5, 1, v3
	s_delay_alu instid0(VALU_DEP_1) | instskip(NEXT) | instid1(VALU_DEP_1)
	v_xor_b32_e32 v3, v5, v3
	v_and_b32_e32 v3, 0x55555555, v3
	s_delay_alu instid0(VALU_DEP_1)
	v_cmpx_eq_u32_e32 0, v3
	s_cbranch_execz .LBB3_216
; %bb.218:                              ;   in Loop: Header=BB3_217 Depth=2
	v_add_nc_u32_e32 v2, -1, v2
	v_add_co_u32 v0, s0, v0, 4
	s_wait_alu 0xf1fe
	v_add_co_ci_u32_e64 v1, null, 0, v1, s0
	s_delay_alu instid0(VALU_DEP_3)
	v_cmp_eq_u32_e32 vcc_lo, 0, v2
	s_and_not1_b32 s0, s14, exec_lo
	s_and_not1_b32 s13, s13, exec_lo
	s_and_b32 s14, vcc_lo, exec_lo
	s_wait_alu 0xfffe
	s_or_b32 s14, s0, s14
	s_branch .LBB3_216
.LBB3_219:                              ;   in Loop: Header=BB3_160 Depth=1
	s_or_b32 exec_lo, exec_lo, s11
	s_wait_alu 0xfffe
	s_or_not1_b32 s0, s12, exec_lo
.LBB3_220:                              ;   in Loop: Header=BB3_160 Depth=1
	s_wait_alu 0xfffe
	s_or_b32 exec_lo, exec_lo, s10
	s_delay_alu instid0(SALU_CYCLE_1)
	s_and_not1_b32 s6, s6, exec_lo
	s_and_b32 s0, s0, exec_lo
	v_mov_b32_e32 v54, 1
	s_wait_alu 0xfffe
	s_or_b32 s6, s6, s0
.LBB3_221:                              ;   in Loop: Header=BB3_160 Depth=1
	s_or_b32 exec_lo, exec_lo, s7
	s_delay_alu instid0(SALU_CYCLE_1)
	s_and_not1_b32 s0, s1, exec_lo
	s_wait_alu 0xfffe
	s_and_b32 s1, s6, exec_lo
	s_wait_alu 0xfffe
	s_or_b32 s1, s0, s1
.LBB3_222:                              ;   in Loop: Header=BB3_160 Depth=1
	s_wait_alu 0xfffe
	s_or_b32 exec_lo, exec_lo, s5
	s_mov_b32 s0, -1
	s_mov_b32 s6, -1
	s_and_saveexec_b32 s5, s1
	s_cbranch_execz .LBB3_159
; %bb.223:                              ;   in Loop: Header=BB3_160 Depth=1
	s_mov_b32 s6, 0
	s_mov_b32 s11, 0
	;; [unrolled: 1-line block ×3, first 2 shown]
                                        ; implicit-def: $vgpr54
	s_mov_b32 s0, exec_lo
	v_cmpx_lt_i32_e32 2, v4
	s_wait_alu 0xfffe
	s_xor_b32 s1, exec_lo, s0
	s_cbranch_execnz .LBB3_227
; %bb.224:                              ;   in Loop: Header=BB3_160 Depth=1
	s_wait_alu 0xfffe
	s_and_not1_saveexec_b32 s1, s1
	s_cbranch_execnz .LBB3_256
.LBB3_225:                              ;   in Loop: Header=BB3_160 Depth=1
	s_wait_alu 0xfffe
	s_or_b32 exec_lo, exec_lo, s1
	s_and_saveexec_b32 s10, s11
	s_cbranch_execnz .LBB3_267
.LBB3_226:                              ;   in Loop: Header=BB3_160 Depth=1
	s_wait_alu 0xfffe
	s_or_b32 exec_lo, exec_lo, s10
	s_and_saveexec_b32 s0, s6
	s_wait_alu 0xfffe
	s_xor_b32 s1, exec_lo, s0
	s_cbranch_execnz .LBB3_280
	s_branch .LBB3_287
.LBB3_227:                              ;   in Loop: Header=BB3_160 Depth=1
	s_mov_b32 s10, 0
                                        ; implicit-def: $vgpr54
	s_mov_b32 s0, exec_lo
	v_cmpx_lt_i32_e32 3, v4
	s_wait_alu 0xfffe
	s_xor_b32 s7, exec_lo, s0
	s_cbranch_execz .LBB3_247
; %bb.228:                              ;   in Loop: Header=BB3_160 Depth=1
	s_mov_b32 s0, exec_lo
	v_cmpx_lt_i32_e32 4, v4
	s_wait_alu 0xfffe
	s_xor_b32 s12, exec_lo, s0
	s_cbranch_execz .LBB3_238
; %bb.229:                              ;   in Loop: Header=BB3_160 Depth=1
	s_mov_b32 s0, -1
	s_mov_b32 s10, exec_lo
	v_cmpx_eq_u32_e32 5, v4
	s_cbranch_execz .LBB3_237
; %bb.230:                              ;   in Loop: Header=BB3_160 Depth=1
	s_and_saveexec_b32 s11, s69
	s_cbranch_execz .LBB3_236
; %bb.231:                              ;   in Loop: Header=BB3_160 Depth=1
	v_dual_mov_b32 v0, v56 :: v_dual_mov_b32 v1, v57
	v_mov_b32_e32 v2, v73
	s_mov_b32 s13, 0
                                        ; implicit-def: $sgpr14
                                        ; implicit-def: $sgpr16
                                        ; implicit-def: $sgpr15
	s_branch .LBB3_233
.LBB3_232:                              ;   in Loop: Header=BB3_233 Depth=2
	s_wait_alu 0xfffe
	s_or_b32 exec_lo, exec_lo, s17
	s_xor_b32 s0, s15, -1
	s_and_b32 s17, exec_lo, s16
	s_wait_alu 0xfffe
	s_or_b32 s13, s17, s13
	s_and_not1_b32 s14, s14, exec_lo
	s_and_b32 s0, s0, exec_lo
	s_wait_alu 0xfffe
	s_or_b32 s14, s14, s0
	s_and_not1_b32 exec_lo, exec_lo, s13
	s_cbranch_execz .LBB3_235
.LBB3_233:                              ;   Parent Loop BB3_160 Depth=1
                                        ; =>  This Inner Loop Header: Depth=2
	flat_load_b32 v3, v[0:1]
	s_or_b32 s15, s15, exec_lo
	s_or_b32 s16, s16, exec_lo
	s_mov_b32 s17, exec_lo
	s_wait_loadcnt_dscnt 0x0
	v_and_b32_e32 v5, 0xffff, v3
	v_lshrrev_b32_e32 v3, 16, v3
	s_delay_alu instid0(VALU_DEP_1)
	v_cmpx_eq_u32_e64 v5, v3
	s_cbranch_execz .LBB3_232
; %bb.234:                              ;   in Loop: Header=BB3_233 Depth=2
	v_add_nc_u32_e32 v2, -1, v2
	v_add_co_u32 v0, s0, v0, 4
	s_wait_alu 0xf1fe
	v_add_co_ci_u32_e64 v1, null, 0, v1, s0
	s_delay_alu instid0(VALU_DEP_3)
	v_cmp_eq_u32_e32 vcc_lo, 0, v2
	s_and_not1_b32 s0, s16, exec_lo
	s_and_not1_b32 s15, s15, exec_lo
	s_and_b32 s16, vcc_lo, exec_lo
	s_wait_alu 0xfffe
	s_or_b32 s16, s0, s16
	s_branch .LBB3_232
.LBB3_235:                              ;   in Loop: Header=BB3_160 Depth=1
	s_or_b32 exec_lo, exec_lo, s13
	s_wait_alu 0xfffe
	s_or_not1_b32 s0, s14, exec_lo
.LBB3_236:                              ;   in Loop: Header=BB3_160 Depth=1
	s_wait_alu 0xfffe
	s_or_b32 exec_lo, exec_lo, s11
	s_delay_alu instid0(SALU_CYCLE_1)
	s_and_b32 s11, s0, exec_lo
	s_xor_b32 s0, exec_lo, -1
.LBB3_237:                              ;   in Loop: Header=BB3_160 Depth=1
	s_wait_alu 0xfffe
	s_or_b32 exec_lo, exec_lo, s10
	s_delay_alu instid0(SALU_CYCLE_1)
	s_and_b32 s11, s11, exec_lo
	s_and_b32 s10, s0, exec_lo
.LBB3_238:                              ;   in Loop: Header=BB3_160 Depth=1
	s_wait_alu 0xfffe
	s_or_saveexec_b32 s12, s12
	v_mov_b32_e32 v54, 5
	s_wait_alu 0xfffe
	s_xor_b32 exec_lo, exec_lo, s12
	s_cbranch_execz .LBB3_246
; %bb.239:                              ;   in Loop: Header=BB3_160 Depth=1
	s_mov_b32 s0, -1
	s_and_saveexec_b32 s13, s69
	s_cbranch_execz .LBB3_245
; %bb.240:                              ;   in Loop: Header=BB3_160 Depth=1
	v_dual_mov_b32 v0, v56 :: v_dual_mov_b32 v1, v57
	v_mov_b32_e32 v2, v73
	s_mov_b32 s14, 0
                                        ; implicit-def: $sgpr15
                                        ; implicit-def: $sgpr17
                                        ; implicit-def: $sgpr16
	s_branch .LBB3_242
.LBB3_241:                              ;   in Loop: Header=BB3_242 Depth=2
	s_wait_alu 0xfffe
	s_or_b32 exec_lo, exec_lo, s18
	s_xor_b32 s0, s16, -1
	s_and_b32 s18, exec_lo, s17
	s_wait_alu 0xfffe
	s_or_b32 s14, s18, s14
	s_and_not1_b32 s15, s15, exec_lo
	s_and_b32 s0, s0, exec_lo
	s_wait_alu 0xfffe
	s_or_b32 s15, s15, s0
	s_and_not1_b32 exec_lo, exec_lo, s14
	s_cbranch_execz .LBB3_244
.LBB3_242:                              ;   Parent Loop BB3_160 Depth=1
                                        ; =>  This Inner Loop Header: Depth=2
	flat_load_b32 v3, v[0:1]
	s_or_b32 s16, s16, exec_lo
	s_or_b32 s17, s17, exec_lo
	s_mov_b32 s18, exec_lo
	s_wait_loadcnt_dscnt 0x0
	v_lshrrev_b32_e32 v5, 8, v3
	s_delay_alu instid0(VALU_DEP_1) | instskip(NEXT) | instid1(VALU_DEP_1)
	v_xor_b32_e32 v3, v5, v3
	v_and_b32_e32 v3, 0xff00ff, v3
	s_delay_alu instid0(VALU_DEP_1)
	v_cmpx_eq_u32_e32 0, v3
	s_cbranch_execz .LBB3_241
; %bb.243:                              ;   in Loop: Header=BB3_242 Depth=2
	v_add_nc_u32_e32 v2, -1, v2
	v_add_co_u32 v0, s0, v0, 4
	s_wait_alu 0xf1fe
	v_add_co_ci_u32_e64 v1, null, 0, v1, s0
	s_delay_alu instid0(VALU_DEP_3)
	v_cmp_eq_u32_e32 vcc_lo, 0, v2
	s_and_not1_b32 s0, s17, exec_lo
	s_and_not1_b32 s16, s16, exec_lo
	s_and_b32 s17, vcc_lo, exec_lo
	s_wait_alu 0xfffe
	s_or_b32 s17, s0, s17
	s_branch .LBB3_241
.LBB3_244:                              ;   in Loop: Header=BB3_160 Depth=1
	s_or_b32 exec_lo, exec_lo, s14
	s_wait_alu 0xfffe
	s_or_not1_b32 s0, s15, exec_lo
.LBB3_245:                              ;   in Loop: Header=BB3_160 Depth=1
	s_wait_alu 0xfffe
	s_or_b32 exec_lo, exec_lo, s13
	v_mov_b32_e32 v54, 4
	s_and_not1_b32 s11, s11, exec_lo
	s_and_b32 s0, s0, exec_lo
	s_wait_alu 0xfffe
	s_or_b32 s11, s11, s0
.LBB3_246:                              ;   in Loop: Header=BB3_160 Depth=1
	s_or_b32 exec_lo, exec_lo, s12
	s_wait_alu 0xfffe
	s_and_b32 s11, s11, exec_lo
	s_and_b32 s10, s10, exec_lo
.LBB3_247:                              ;   in Loop: Header=BB3_160 Depth=1
	s_wait_alu 0xfffe
	s_and_not1_saveexec_b32 s7, s7
	s_cbranch_execz .LBB3_255
; %bb.248:                              ;   in Loop: Header=BB3_160 Depth=1
	s_mov_b32 s0, -1
	s_and_saveexec_b32 s12, s69
	s_cbranch_execz .LBB3_254
; %bb.249:                              ;   in Loop: Header=BB3_160 Depth=1
	v_dual_mov_b32 v0, v56 :: v_dual_mov_b32 v1, v57
	v_mov_b32_e32 v2, v73
	s_mov_b32 s13, 0
                                        ; implicit-def: $sgpr14
                                        ; implicit-def: $sgpr16
                                        ; implicit-def: $sgpr15
	s_branch .LBB3_251
.LBB3_250:                              ;   in Loop: Header=BB3_251 Depth=2
	s_wait_alu 0xfffe
	s_or_b32 exec_lo, exec_lo, s17
	s_xor_b32 s0, s15, -1
	s_and_b32 s17, exec_lo, s16
	s_wait_alu 0xfffe
	s_or_b32 s13, s17, s13
	s_and_not1_b32 s14, s14, exec_lo
	s_and_b32 s0, s0, exec_lo
	s_wait_alu 0xfffe
	s_or_b32 s14, s14, s0
	s_and_not1_b32 exec_lo, exec_lo, s13
	s_cbranch_execz .LBB3_253
.LBB3_251:                              ;   Parent Loop BB3_160 Depth=1
                                        ; =>  This Inner Loop Header: Depth=2
	flat_load_b32 v3, v[0:1]
	s_or_b32 s15, s15, exec_lo
	s_or_b32 s16, s16, exec_lo
	s_mov_b32 s17, exec_lo
	s_wait_loadcnt_dscnt 0x0
	v_lshrrev_b32_e32 v5, 4, v3
	s_delay_alu instid0(VALU_DEP_1) | instskip(NEXT) | instid1(VALU_DEP_1)
	v_xor_b32_e32 v3, v5, v3
	v_and_b32_e32 v3, 0xf0f0f0f, v3
	s_delay_alu instid0(VALU_DEP_1)
	v_cmpx_eq_u32_e32 0, v3
	s_cbranch_execz .LBB3_250
; %bb.252:                              ;   in Loop: Header=BB3_251 Depth=2
	v_add_nc_u32_e32 v2, -1, v2
	v_add_co_u32 v0, s0, v0, 4
	s_wait_alu 0xf1fe
	v_add_co_ci_u32_e64 v1, null, 0, v1, s0
	s_delay_alu instid0(VALU_DEP_3)
	v_cmp_eq_u32_e32 vcc_lo, 0, v2
	s_and_not1_b32 s0, s16, exec_lo
	s_and_not1_b32 s15, s15, exec_lo
	s_and_b32 s16, vcc_lo, exec_lo
	s_wait_alu 0xfffe
	s_or_b32 s16, s0, s16
	s_branch .LBB3_250
.LBB3_253:                              ;   in Loop: Header=BB3_160 Depth=1
	s_or_b32 exec_lo, exec_lo, s13
	s_wait_alu 0xfffe
	s_or_not1_b32 s0, s14, exec_lo
.LBB3_254:                              ;   in Loop: Header=BB3_160 Depth=1
	s_wait_alu 0xfffe
	s_or_b32 exec_lo, exec_lo, s12
	v_mov_b32_e32 v54, 3
	s_and_not1_b32 s11, s11, exec_lo
	s_and_b32 s0, s0, exec_lo
	s_wait_alu 0xfffe
	s_or_b32 s11, s11, s0
.LBB3_255:                              ;   in Loop: Header=BB3_160 Depth=1
	s_wait_alu 0xfffe
	s_or_b32 exec_lo, exec_lo, s7
	s_delay_alu instid0(SALU_CYCLE_1)
	s_and_b32 s7, s11, exec_lo
	s_and_b32 s11, s10, exec_lo
	s_and_not1_saveexec_b32 s1, s1
	s_cbranch_execz .LBB3_225
.LBB3_256:                              ;   in Loop: Header=BB3_160 Depth=1
	s_wait_alu 0xfffe
	s_mov_b32 s0, s7
	s_mov_b32 s6, exec_lo
	v_cmpx_lt_i32_e32 1, v4
	s_wait_alu 0xfffe
	s_xor_b32 s6, exec_lo, s6
	s_cbranch_execz .LBB3_264
; %bb.257:                              ;   in Loop: Header=BB3_160 Depth=1
	s_mov_b32 s0, -1
	s_and_saveexec_b32 s10, s69
	s_cbranch_execz .LBB3_263
; %bb.258:                              ;   in Loop: Header=BB3_160 Depth=1
	v_dual_mov_b32 v0, v56 :: v_dual_mov_b32 v1, v57
	v_mov_b32_e32 v2, v73
	s_mov_b32 s12, 0
                                        ; implicit-def: $sgpr13
                                        ; implicit-def: $sgpr15
                                        ; implicit-def: $sgpr14
	s_branch .LBB3_260
.LBB3_259:                              ;   in Loop: Header=BB3_260 Depth=2
	s_wait_alu 0xfffe
	s_or_b32 exec_lo, exec_lo, s16
	s_xor_b32 s0, s14, -1
	s_and_b32 s16, exec_lo, s15
	s_wait_alu 0xfffe
	s_or_b32 s12, s16, s12
	s_and_not1_b32 s13, s13, exec_lo
	s_and_b32 s0, s0, exec_lo
	s_wait_alu 0xfffe
	s_or_b32 s13, s13, s0
	s_and_not1_b32 exec_lo, exec_lo, s12
	s_cbranch_execz .LBB3_262
.LBB3_260:                              ;   Parent Loop BB3_160 Depth=1
                                        ; =>  This Inner Loop Header: Depth=2
	flat_load_b32 v3, v[0:1]
	s_or_b32 s14, s14, exec_lo
	s_or_b32 s15, s15, exec_lo
	s_mov_b32 s16, exec_lo
	s_wait_loadcnt_dscnt 0x0
	v_lshrrev_b32_e32 v5, 2, v3
	s_delay_alu instid0(VALU_DEP_1) | instskip(NEXT) | instid1(VALU_DEP_1)
	v_xor_b32_e32 v3, v5, v3
	v_and_b32_e32 v3, 0x33333333, v3
	s_delay_alu instid0(VALU_DEP_1)
	v_cmpx_eq_u32_e32 0, v3
	s_cbranch_execz .LBB3_259
; %bb.261:                              ;   in Loop: Header=BB3_260 Depth=2
	v_add_nc_u32_e32 v2, -1, v2
	v_add_co_u32 v0, s0, v0, 4
	s_wait_alu 0xf1fe
	v_add_co_ci_u32_e64 v1, null, 0, v1, s0
	s_delay_alu instid0(VALU_DEP_3)
	v_cmp_eq_u32_e32 vcc_lo, 0, v2
	s_and_not1_b32 s0, s15, exec_lo
	s_and_not1_b32 s14, s14, exec_lo
	s_and_b32 s15, vcc_lo, exec_lo
	s_wait_alu 0xfffe
	s_or_b32 s15, s0, s15
	s_branch .LBB3_259
.LBB3_262:                              ;   in Loop: Header=BB3_160 Depth=1
	s_or_b32 exec_lo, exec_lo, s12
	s_wait_alu 0xfffe
	s_or_not1_b32 s0, s13, exec_lo
.LBB3_263:                              ;   in Loop: Header=BB3_160 Depth=1
	s_wait_alu 0xfffe
	s_or_b32 exec_lo, exec_lo, s10
	s_delay_alu instid0(SALU_CYCLE_1)
	s_and_not1_b32 s10, s7, exec_lo
	s_and_b32 s0, s0, exec_lo
	s_wait_alu 0xfffe
	s_or_b32 s0, s10, s0
.LBB3_264:                              ;   in Loop: Header=BB3_160 Depth=1
	s_wait_alu 0xfffe
	s_or_saveexec_b32 s10, s6
	s_mov_b32 s6, 0
	s_mov_b32 s12, s11
	s_wait_alu 0xfffe
	s_xor_b32 exec_lo, exec_lo, s10
; %bb.265:                              ;   in Loop: Header=BB3_160 Depth=1
	v_cmp_ne_u32_e32 vcc_lo, 1, v4
	s_and_not1_b32 s12, s11, exec_lo
	s_mov_b32 s6, exec_lo
	s_and_b32 s13, vcc_lo, exec_lo
	s_wait_alu 0xfffe
	s_or_b32 s12, s12, s13
; %bb.266:                              ;   in Loop: Header=BB3_160 Depth=1
	s_or_b32 exec_lo, exec_lo, s10
	s_delay_alu instid0(SALU_CYCLE_1)
	s_and_not1_b32 s7, s7, exec_lo
	s_and_b32 s0, s0, exec_lo
	v_mov_b32_e32 v54, 2
	s_wait_alu 0xfffe
	s_or_b32 s7, s7, s0
	s_and_not1_b32 s0, s11, exec_lo
	s_and_b32 s10, s12, exec_lo
	s_and_b32 s6, s6, exec_lo
	s_wait_alu 0xfffe
	s_or_b32 s11, s0, s10
	s_or_b32 exec_lo, exec_lo, s1
	s_wait_alu 0xfffe
	s_and_saveexec_b32 s10, s11
	s_cbranch_execz .LBB3_226
.LBB3_267:                              ;   in Loop: Header=BB3_160 Depth=1
	s_mov_b32 s0, -1
	s_and_saveexec_b32 s11, s69
	s_cbranch_execz .LBB3_279
; %bb.268:                              ;   in Loop: Header=BB3_160 Depth=1
	v_add_nc_u32_e32 v5, -6, v4
	v_dual_mov_b32 v7, v56 :: v_dual_mov_b32 v8, v57
	s_mov_b32 s12, 0
                                        ; implicit-def: $sgpr13
	s_delay_alu instid0(VALU_DEP_2) | instskip(SKIP_2) | instid1(VALU_DEP_3)
	v_lshlrev_b32_e64 v2, v5, 1
	v_lshlrev_b32_e64 v0, v5, 2
	v_cmp_ne_u32_e32 vcc_lo, 31, v5
	v_ashrrev_i32_e32 v3, 31, v2
	s_delay_alu instid0(VALU_DEP_3) | instskip(SKIP_1) | instid1(VALU_DEP_3)
	v_ashrrev_i32_e32 v1, 31, v0
	v_max_i32_e32 v11, 1, v2
	v_lshlrev_b64_e32 v[2:3], 2, v[2:3]
	s_delay_alu instid0(VALU_DEP_3)
	v_lshlrev_b64_e32 v[5:6], 2, v[0:1]
	v_mov_b32_e32 v1, 0
	s_branch .LBB3_270
.LBB3_269:                              ;   in Loop: Header=BB3_270 Depth=2
	s_wait_alu 0xfffe
	s_or_b32 exec_lo, exec_lo, s15
	s_xor_b32 s0, s1, -1
	s_and_b32 s1, exec_lo, s14
	s_wait_alu 0xfffe
	s_or_b32 s12, s1, s12
	s_and_not1_b32 s1, s13, exec_lo
	s_and_b32 s0, s0, exec_lo
	s_wait_alu 0xfffe
	s_or_b32 s13, s1, s0
	s_and_not1_b32 exec_lo, exec_lo, s12
	s_cbranch_execz .LBB3_278
.LBB3_270:                              ;   Parent Loop BB3_160 Depth=1
                                        ; =>  This Loop Header: Depth=2
                                        ;       Child Loop BB3_273 Depth 3
	s_mov_b32 s14, -1
	s_mov_b32 s0, -1
	s_and_saveexec_b32 s15, vcc_lo
	s_cbranch_execz .LBB3_276
; %bb.271:                              ;   in Loop: Header=BB3_270 Depth=2
	v_dual_mov_b32 v10, v8 :: v_dual_mov_b32 v9, v7
	v_mov_b32_e32 v12, v11
	s_mov_b32 s16, 0
                                        ; implicit-def: $sgpr17
                                        ; implicit-def: $sgpr19
                                        ; implicit-def: $sgpr18
	s_branch .LBB3_273
.LBB3_272:                              ;   in Loop: Header=BB3_273 Depth=3
	s_wait_alu 0xfffe
	s_or_b32 exec_lo, exec_lo, s20
	s_xor_b32 s0, s18, -1
	s_and_b32 s1, exec_lo, s19
	s_wait_alu 0xfffe
	s_or_b32 s16, s1, s16
	s_and_not1_b32 s1, s17, exec_lo
	s_and_b32 s0, s0, exec_lo
	s_wait_alu 0xfffe
	s_or_b32 s17, s1, s0
	s_and_not1_b32 exec_lo, exec_lo, s16
	s_cbranch_execz .LBB3_275
.LBB3_273:                              ;   Parent Loop BB3_160 Depth=1
                                        ;     Parent Loop BB3_270 Depth=2
                                        ; =>    This Inner Loop Header: Depth=3
	s_delay_alu instid0(VALU_DEP_2)
	v_add_co_u32 v13, s0, v9, v2
	s_wait_alu 0xf1fe
	v_add_co_ci_u32_e64 v14, null, v10, v3, s0
	s_or_b32 s18, s18, exec_lo
	s_or_b32 s19, s19, exec_lo
	s_clause 0x1
	flat_load_b32 v15, v[9:10]
	flat_load_b32 v13, v[13:14]
	s_mov_b32 s20, exec_lo
	s_wait_loadcnt_dscnt 0x0
	v_cmpx_eq_u32_e64 v15, v13
	s_cbranch_execz .LBB3_272
; %bb.274:                              ;   in Loop: Header=BB3_273 Depth=3
	v_add_nc_u32_e32 v12, -1, v12
	v_add_co_u32 v9, s1, v9, 4
	s_wait_alu 0xf1ff
	v_add_co_ci_u32_e64 v10, null, 0, v10, s1
	s_delay_alu instid0(VALU_DEP_3)
	v_cmp_eq_u32_e64 s0, 0, v12
	s_wait_alu 0xfffe
	s_and_not1_b32 s1, s19, exec_lo
	s_and_not1_b32 s18, s18, exec_lo
	s_and_b32 s0, s0, exec_lo
	s_wait_alu 0xfffe
	s_or_b32 s19, s1, s0
	s_branch .LBB3_272
.LBB3_275:                              ;   in Loop: Header=BB3_270 Depth=2
	s_or_b32 exec_lo, exec_lo, s16
	s_wait_alu 0xfffe
	s_or_not1_b32 s0, s17, exec_lo
.LBB3_276:                              ;   in Loop: Header=BB3_270 Depth=2
	s_wait_alu 0xfffe
	s_or_b32 exec_lo, exec_lo, s15
	s_mov_b32 s1, -1
	s_and_saveexec_b32 s15, s0
	s_cbranch_execz .LBB3_269
; %bb.277:                              ;   in Loop: Header=BB3_270 Depth=2
	v_add_nc_u32_e32 v1, v1, v0
	v_add_co_u32 v7, s1, v7, v5
	s_wait_alu 0xf1fe
	v_add_co_ci_u32_e64 v8, null, v8, v6, s1
	s_delay_alu instid0(VALU_DEP_3)
	v_cmp_ge_i32_e64 s0, v1, v73
	s_xor_b32 s1, exec_lo, -1
	s_or_not1_b32 s14, s0, exec_lo
	s_branch .LBB3_269
.LBB3_278:                              ;   in Loop: Header=BB3_160 Depth=1
	s_or_b32 exec_lo, exec_lo, s12
	s_wait_alu 0xfffe
	s_or_not1_b32 s0, s13, exec_lo
.LBB3_279:                              ;   in Loop: Header=BB3_160 Depth=1
	s_wait_alu 0xfffe
	s_or_b32 exec_lo, exec_lo, s11
	v_mov_b32_e32 v54, v4
	s_and_not1_b32 s1, s7, exec_lo
	s_and_b32 s0, s0, exec_lo
	s_and_not1_b32 s6, s6, exec_lo
	s_wait_alu 0xfffe
	s_or_b32 s7, s1, s0
	s_or_b32 exec_lo, exec_lo, s10
	s_and_saveexec_b32 s0, s6
	s_wait_alu 0xfffe
	s_xor_b32 s1, exec_lo, s0
	s_cbranch_execz .LBB3_287
.LBB3_280:                              ;   in Loop: Header=BB3_160 Depth=1
	s_mov_b32 s0, -1
	s_and_saveexec_b32 s6, s69
	s_cbranch_execz .LBB3_286
; %bb.281:                              ;   in Loop: Header=BB3_160 Depth=1
	v_dual_mov_b32 v0, v56 :: v_dual_mov_b32 v1, v57
	v_mov_b32_e32 v2, v73
	s_mov_b32 s10, 0
                                        ; implicit-def: $sgpr11
                                        ; implicit-def: $sgpr13
                                        ; implicit-def: $sgpr12
	s_branch .LBB3_283
.LBB3_282:                              ;   in Loop: Header=BB3_283 Depth=2
	s_wait_alu 0xfffe
	s_or_b32 exec_lo, exec_lo, s14
	s_xor_b32 s0, s12, -1
	s_and_b32 s14, exec_lo, s13
	s_wait_alu 0xfffe
	s_or_b32 s10, s14, s10
	s_and_not1_b32 s11, s11, exec_lo
	s_and_b32 s0, s0, exec_lo
	s_wait_alu 0xfffe
	s_or_b32 s11, s11, s0
	s_and_not1_b32 exec_lo, exec_lo, s10
	s_cbranch_execz .LBB3_285
.LBB3_283:                              ;   Parent Loop BB3_160 Depth=1
                                        ; =>  This Inner Loop Header: Depth=2
	flat_load_b32 v3, v[0:1]
	s_or_b32 s12, s12, exec_lo
	s_or_b32 s13, s13, exec_lo
	s_mov_b32 s14, exec_lo
	s_wait_loadcnt_dscnt 0x0
	v_lshrrev_b32_e32 v5, 1, v3
	s_delay_alu instid0(VALU_DEP_1) | instskip(NEXT) | instid1(VALU_DEP_1)
	v_xor_b32_e32 v3, v5, v3
	v_and_b32_e32 v3, 0x55555555, v3
	s_delay_alu instid0(VALU_DEP_1)
	v_cmpx_eq_u32_e32 0, v3
	s_cbranch_execz .LBB3_282
; %bb.284:                              ;   in Loop: Header=BB3_283 Depth=2
	v_add_nc_u32_e32 v2, -1, v2
	v_add_co_u32 v0, s0, v0, 4
	s_wait_alu 0xf1fe
	v_add_co_ci_u32_e64 v1, null, 0, v1, s0
	s_delay_alu instid0(VALU_DEP_3)
	v_cmp_eq_u32_e32 vcc_lo, 0, v2
	s_and_not1_b32 s0, s13, exec_lo
	s_and_not1_b32 s12, s12, exec_lo
	s_and_b32 s13, vcc_lo, exec_lo
	s_wait_alu 0xfffe
	s_or_b32 s13, s0, s13
	s_branch .LBB3_282
.LBB3_285:                              ;   in Loop: Header=BB3_160 Depth=1
	s_or_b32 exec_lo, exec_lo, s10
	s_wait_alu 0xfffe
	s_or_not1_b32 s0, s11, exec_lo
.LBB3_286:                              ;   in Loop: Header=BB3_160 Depth=1
	s_wait_alu 0xfffe
	s_or_b32 exec_lo, exec_lo, s6
	s_delay_alu instid0(SALU_CYCLE_1)
	s_and_not1_b32 s6, s7, exec_lo
	s_and_b32 s0, s0, exec_lo
	v_mov_b32_e32 v54, 1
	s_wait_alu 0xfffe
	s_or_b32 s7, s6, s0
.LBB3_287:                              ;   in Loop: Header=BB3_160 Depth=1
	s_wait_alu 0xfffe
	s_or_b32 exec_lo, exec_lo, s1
	s_mov_b32 s0, -1
	s_mov_b32 s1, -1
	s_and_saveexec_b32 s6, s7
	s_cbranch_execz .LBB3_158
; %bb.288:                              ;   in Loop: Header=BB3_160 Depth=1
	v_cmp_gt_i32_e32 vcc_lo, 2, v4
	s_xor_b32 s1, exec_lo, -1
	s_or_not1_b32 s0, vcc_lo, exec_lo
	s_branch .LBB3_158
.LBB3_289:
	s_or_b32 exec_lo, exec_lo, s3
	s_delay_alu instid0(SALU_CYCLE_1)
	s_mov_b32 s17, exec_lo
	s_wait_alu 0xfffe
	s_or_not1_b32 s0, s4, exec_lo
	s_or_b32 exec_lo, exec_lo, s2
	s_mov_b32 s70, s64
	s_wait_alu 0xfffe
	s_and_saveexec_b32 s20, s0
	s_cbranch_execz .LBB3_156
.LBB3_290:
	s_getpc_b64 s[0:1]
	s_wait_alu 0xfffe
	s_sext_i32_i16 s1, s1
	s_add_co_u32 s0, s0, .str.21@rel32@lo+12
	s_wait_alu 0xfffe
	s_add_co_ci_u32 s1, s1, .str.21@rel32@hi+24
	s_getpc_b64 s[2:3]
	s_wait_alu 0xfffe
	s_sext_i32_i16 s3, s3
	s_add_co_u32 s2, s2, .str.16@rel32@lo+12
	s_wait_alu 0xfffe
	s_add_co_ci_u32 s3, s3, .str.16@rel32@hi+24
	s_getpc_b64 s[4:5]
	s_wait_alu 0xfffe
	s_sext_i32_i16 s5, s5
	s_add_co_u32 s4, s4, __PRETTY_FUNCTION__._ZN3sop13minatoIsopRecEPKjS1_iPNS_3SopEP7VecsMemIjLi8192EE@rel32@lo+12
	s_wait_alu 0xfffe
	s_add_co_ci_u32 s5, s5, __PRETTY_FUNCTION__._ZN3sop13minatoIsopRecEPKjS1_iPNS_3SopEP7VecsMemIjLi8192EE@rel32@hi+24
	v_dual_mov_b32 v0, s0 :: v_dual_mov_b32 v1, s1
	v_dual_mov_b32 v2, s2 :: v_dual_mov_b32 v3, s3
	;; [unrolled: 1-line block ×3, first 2 shown]
	s_wait_alu 0xfffe
	v_dual_mov_b32 v5, s4 :: v_dual_mov_b32 v6, s5
	s_getpc_b64 s[6:7]
	s_wait_alu 0xfffe
	s_sext_i32_i16 s7, s7
	s_add_co_u32 s6, s6, __assert_fail@rel32@lo+12
	s_wait_alu 0xfffe
	s_add_co_ci_u32 s7, s7, __assert_fail@rel32@hi+24
	s_mov_b64 s[18:19], s[8:9]
	s_wait_alu 0xfffe
	s_swappc_b64 s[30:31], s[6:7]
	v_mov_b32_e32 v4, v55
	s_mov_b64 s[8:9], s[18:19]
	s_or_b32 s70, s64, exec_lo
	s_and_not1_b32 s17, s17, exec_lo
	s_or_b32 exec_lo, exec_lo, s20
	s_mov_b32 s0, 0
	s_wait_alu 0xfffe
	s_and_saveexec_b32 s71, s17
	s_cbranch_execz .LBB3_494
.LBB3_291:
	s_mov_b32 s80, 0
	s_mov_b32 s81, s70
	s_mov_b32 s0, exec_lo
	v_cmpx_lt_i32_e32 5, v54
	s_wait_alu 0xfffe
	s_xor_b32 s37, exec_lo, s0
	s_cbranch_execz .LBB3_488
; %bb.292:
	v_add_nc_u32_e32 v78, -6, v54
	s_delay_alu instid0(VALU_DEP_1) | instskip(SKIP_1) | instid1(VALU_DEP_2)
	v_lshlrev_b32_e64 v76, v78, 1
	v_cmp_ne_u32_e64 s36, 31, v78
	v_ashrrev_i32_e32 v77, 31, v76
	s_delay_alu instid0(VALU_DEP_1)
	v_lshlrev_b64_e32 v[74:75], 2, v[76:77]
	s_and_saveexec_b32 s1, s36
	s_cbranch_execz .LBB3_295
; %bb.293:
	v_dual_mov_b32 v1, 0 :: v_dual_add_nc_u32 v0, -1, v76
	v_add_nc_u32_e32 v7, 1, v76
	s_mov_b32 s2, 0
	s_delay_alu instid0(VALU_DEP_2) | instskip(NEXT) | instid1(VALU_DEP_1)
	v_lshlrev_b64_e32 v[5:6], 2, v[0:1]
	v_add_co_u32 v2, vcc_lo, v74, v5
	s_wait_alu 0xfffd
	s_delay_alu instid0(VALU_DEP_2)
	v_add_co_ci_u32_e64 v3, null, v75, v6, vcc_lo
	v_add_co_u32 v0, vcc_lo, v41, v5
	s_wait_alu 0xfffd
	v_add_co_ci_u32_e64 v1, null, v42, v6, vcc_lo
	v_add_co_u32 v2, vcc_lo, v56, v2
	s_wait_alu 0xfffd
	v_add_co_ci_u32_e64 v3, null, v57, v3, vcc_lo
	v_add_co_u32 v5, vcc_lo, v58, v5
	s_wait_alu 0xfffd
	v_add_co_ci_u32_e64 v6, null, v59, v6, vcc_lo
.LBB3_294:                              ; =>This Inner Loop Header: Depth=1
	flat_load_b32 v8, v[5:6]
	flat_load_b32 v9, v[2:3]
	v_add_nc_u32_e32 v7, -1, v7
	v_add_co_u32 v2, vcc_lo, v2, -4
	s_wait_alu 0xfffd
	v_add_co_ci_u32_e64 v3, null, -1, v3, vcc_lo
	v_add_co_u32 v5, vcc_lo, v5, -4
	s_wait_alu 0xfffd
	v_add_co_ci_u32_e64 v6, null, -1, v6, vcc_lo
	v_cmp_gt_u32_e32 vcc_lo, 2, v7
	s_wait_alu 0xfffe
	s_or_b32 s2, vcc_lo, s2
	s_wait_loadcnt_dscnt 0x0
	v_bfi_b32 v8, v9, 0, v8
	flat_store_b32 v[0:1], v8
	v_add_co_u32 v0, s0, v0, -4
	s_wait_alu 0xf1ff
	v_add_co_ci_u32_e64 v1, null, -1, v1, s0
	s_wait_alu 0xfffe
	s_and_not1_b32 exec_lo, exec_lo, s2
	s_cbranch_execnz .LBB3_294
.LBB3_295:
	s_wait_alu 0xfffe
	s_or_b32 exec_lo, exec_lo, s1
	s_mov_b64 s[0:1], src_private_base
	s_getpc_b64 s[2:3]
	s_wait_alu 0xfffe
	s_sext_i32_i16 s3, s3
	s_add_co_u32 s2, s2, _ZN3sop13minatoIsopRecEPKjS1_iPNS_3SopEP7VecsMemIjLi8192EE@rel32@lo+12
	s_wait_alu 0xfffe
	s_add_co_ci_u32 s3, s3, _ZN3sop13minatoIsopRecEPKjS1_iPNS_3SopEP7VecsMemIjLi8192EE@rel32@hi+24
	s_add_co_i32 s0, s33, 0x60
	v_dual_mov_b32 v0, v41 :: v_dual_mov_b32 v1, v42
	v_dual_mov_b32 v2, v56 :: v_dual_mov_b32 v3, v57
	;; [unrolled: 1-line block ×3, first 2 shown]
	s_wait_alu 0xfffe
	v_dual_mov_b32 v5, s0 :: v_dual_mov_b32 v8, v44
	v_mov_b32_e32 v7, v43
	s_mov_b64 s[34:35], s[8:9]
	s_wait_alu 0xfffe
	s_swappc_b64 s[30:31], s[2:3]
	v_dual_mov_b32 v47, v0 :: v_dual_mov_b32 v60, v1
	s_and_saveexec_b32 s1, s36
	s_cbranch_execz .LBB3_298
; %bb.296:
	v_dual_mov_b32 v1, 0 :: v_dual_add_nc_u32 v0, -1, v76
	v_add_nc_u32_e32 v6, 1, v76
	s_mov_b32 s2, 0
	s_delay_alu instid0(VALU_DEP_2) | instskip(NEXT) | instid1(VALU_DEP_1)
	v_lshlrev_b64_e32 v[0:1], 2, v[0:1]
	v_add_co_u32 v4, vcc_lo, v74, v0
	s_wait_alu 0xfffd
	s_delay_alu instid0(VALU_DEP_2)
	v_add_co_ci_u32_e64 v5, null, v75, v1, vcc_lo
	v_add_co_u32 v0, vcc_lo, v56, v0
	s_wait_alu 0xfffd
	v_add_co_ci_u32_e64 v1, null, v57, v1, vcc_lo
	v_add_co_u32 v2, vcc_lo, v41, v4
	s_wait_alu 0xfffd
	;; [unrolled: 3-line block ×3, first 2 shown]
	v_add_co_ci_u32_e64 v5, null, v59, v5, vcc_lo
.LBB3_297:                              ; =>This Inner Loop Header: Depth=1
	flat_load_b32 v7, v[4:5]
	flat_load_b32 v8, v[0:1]
	v_add_nc_u32_e32 v6, -1, v6
	v_add_co_u32 v0, vcc_lo, v0, -4
	s_wait_alu 0xfffd
	v_add_co_ci_u32_e64 v1, null, -1, v1, vcc_lo
	v_add_co_u32 v4, vcc_lo, v4, -4
	s_wait_alu 0xfffd
	v_add_co_ci_u32_e64 v5, null, -1, v5, vcc_lo
	v_cmp_gt_u32_e32 vcc_lo, 2, v6
	s_wait_alu 0xfffe
	s_or_b32 s2, vcc_lo, s2
	s_wait_loadcnt_dscnt 0x0
	v_bfi_b32 v7, v8, 0, v7
	flat_store_b32 v[2:3], v7
	v_add_co_u32 v2, s0, v2, -4
	s_wait_alu 0xf1ff
	v_add_co_ci_u32_e64 v3, null, -1, v3, s0
	s_wait_alu 0xfffe
	s_and_not1_b32 exec_lo, exec_lo, s2
	s_cbranch_execnz .LBB3_297
.LBB3_298:
	s_wait_alu 0xfffe
	s_or_b32 exec_lo, exec_lo, s1
	v_add_co_u32 v40, vcc_lo, v41, v74
	s_wait_alu 0xfffd
	v_add_co_ci_u32_e64 v72, null, v42, v75, vcc_lo
	s_mov_b64 s[0:1], src_private_base
	s_getpc_b64 s[2:3]
	s_wait_alu 0xfffe
	s_sext_i32_i16 s3, s3
	s_add_co_u32 s2, s2, _ZN3sop13minatoIsopRecEPKjS1_iPNS_3SopEP7VecsMemIjLi8192EE@rel32@lo+12
	s_wait_alu 0xfffe
	s_add_co_ci_u32 s3, s3, _ZN3sop13minatoIsopRecEPKjS1_iPNS_3SopEP7VecsMemIjLi8192EE@rel32@hi+24
	v_add_co_u32 v2, vcc_lo, v56, v74
	s_add_co_i32 s0, s33, 0x70
	s_wait_alu 0xfffd
	v_add_co_ci_u32_e64 v3, null, v57, v75, vcc_lo
	v_dual_mov_b32 v0, v40 :: v_dual_mov_b32 v1, v72
	s_wait_alu 0xfffe
	v_dual_mov_b32 v4, v63 :: v_dual_mov_b32 v5, s0
	v_dual_mov_b32 v6, s1 :: v_dual_mov_b32 v7, v43
	v_mov_b32_e32 v8, v44
	s_mov_b64 s[8:9], s[34:35]
	s_wait_alu 0xfffe
	s_swappc_b64 s[30:31], s[2:3]
	v_dual_mov_b32 v61, v0 :: v_dual_mov_b32 v62, v1
	s_and_saveexec_b32 s1, s36
	s_cbranch_execz .LBB3_307
; %bb.299:
	v_dual_mov_b32 v1, 0 :: v_dual_add_nc_u32 v0, -1, v76
	s_mov_b32 s2, 0
	s_delay_alu instid0(VALU_DEP_1) | instskip(NEXT) | instid1(VALU_DEP_1)
	v_lshlrev_b64_e32 v[0:1], 2, v[0:1]
	v_add_co_u32 v2, vcc_lo, v41, v0
	s_wait_alu 0xfffd
	s_delay_alu instid0(VALU_DEP_2)
	v_add_co_ci_u32_e64 v3, null, v42, v1, vcc_lo
	v_add_nc_u32_e32 v12, 1, v76
	v_add_co_u32 v4, vcc_lo, v47, v0
	s_wait_alu 0xfffd
	v_add_co_ci_u32_e64 v5, null, v60, v1, vcc_lo
	v_add_co_u32 v6, vcc_lo, v58, v0
	v_mov_b32_e32 v9, v3
	s_wait_alu 0xfffd
	v_add_co_ci_u32_e64 v7, null, v59, v1, vcc_lo
	v_mov_b32_e32 v8, v2
	v_mov_b32_e32 v10, v12
.LBB3_300:                              ; =>This Inner Loop Header: Depth=1
	flat_load_b32 v11, v[6:7]
	flat_load_b32 v13, v[4:5]
	v_add_nc_u32_e32 v10, -1, v10
	v_add_co_u32 v4, vcc_lo, v4, -4
	s_wait_alu 0xfffd
	v_add_co_ci_u32_e64 v5, null, -1, v5, vcc_lo
	v_add_co_u32 v6, vcc_lo, v6, -4
	s_wait_alu 0xfffd
	v_add_co_ci_u32_e64 v7, null, -1, v7, vcc_lo
	v_cmp_gt_u32_e32 vcc_lo, 2, v10
	s_wait_alu 0xfffe
	s_or_b32 s2, vcc_lo, s2
	s_wait_loadcnt_dscnt 0x0
	v_bfi_b32 v11, v13, 0, v11
	flat_store_b32 v[8:9], v11
	v_add_co_u32 v8, s0, v8, -4
	s_wait_alu 0xf1ff
	v_add_co_ci_u32_e64 v9, null, -1, v9, s0
	s_wait_alu 0xfffe
	s_and_not1_b32 exec_lo, exec_lo, s2
	s_cbranch_execnz .LBB3_300
; %bb.301:
	s_or_b32 exec_lo, exec_lo, s2
	v_add_co_u32 v8, vcc_lo, v74, v0
	s_wait_alu 0xfffd
	v_add_co_ci_u32_e64 v9, null, v75, v1, vcc_lo
	v_mov_b32_e32 v13, v12
	s_delay_alu instid0(VALU_DEP_3) | instskip(SKIP_1) | instid1(VALU_DEP_3)
	v_add_co_u32 v4, vcc_lo, v41, v8
	s_wait_alu 0xfffd
	v_add_co_ci_u32_e64 v5, null, v42, v9, vcc_lo
	v_add_co_u32 v6, vcc_lo, v61, v0
	s_wait_alu 0xfffd
	v_add_co_ci_u32_e64 v7, null, v62, v1, vcc_lo
	;; [unrolled: 3-line block ×3, first 2 shown]
	v_dual_mov_b32 v11, v5 :: v_dual_mov_b32 v10, v4
	s_mov_b32 s2, 0
.LBB3_302:                              ; =>This Inner Loop Header: Depth=1
	flat_load_b32 v14, v[8:9]
	flat_load_b32 v15, v[6:7]
	v_add_nc_u32_e32 v13, -1, v13
	v_add_co_u32 v6, vcc_lo, v6, -4
	s_wait_alu 0xfffd
	v_add_co_ci_u32_e64 v7, null, -1, v7, vcc_lo
	v_add_co_u32 v8, vcc_lo, v8, -4
	s_wait_alu 0xfffd
	v_add_co_ci_u32_e64 v9, null, -1, v9, vcc_lo
	v_cmp_gt_u32_e32 vcc_lo, 2, v13
	s_wait_alu 0xfffe
	s_or_b32 s2, vcc_lo, s2
	s_wait_loadcnt_dscnt 0x0
	v_bfi_b32 v14, v15, 0, v14
	flat_store_b32 v[10:11], v14
	v_add_co_u32 v10, s0, v10, -4
	s_wait_alu 0xf1ff
	v_add_co_ci_u32_e64 v11, null, -1, v11, s0
	s_wait_alu 0xfffe
	s_and_not1_b32 exec_lo, exec_lo, s2
	s_cbranch_execnz .LBB3_302
; %bb.303:
	s_or_b32 exec_lo, exec_lo, s2
	v_mov_b32_e32 v6, v12
	s_mov_b32 s2, 0
.LBB3_304:                              ; =>This Inner Loop Header: Depth=1
	v_add_co_u32 v7, vcc_lo, v2, v74
	s_wait_alu 0xfffd
	v_add_co_ci_u32_e64 v8, null, v3, v75, vcc_lo
	v_add_nc_u32_e32 v6, -1, v6
	s_clause 0x1
	flat_load_b32 v9, v[2:3]
	flat_load_b32 v7, v[7:8]
	v_cmp_gt_u32_e32 vcc_lo, 2, v6
	s_wait_alu 0xfffe
	s_or_b32 s2, vcc_lo, s2
	s_wait_loadcnt_dscnt 0x0
	v_or_b32_e32 v7, v7, v9
	flat_store_b32 v[2:3], v7
	v_add_co_u32 v2, s0, v2, -4
	s_wait_alu 0xf1ff
	v_add_co_ci_u32_e64 v3, null, -1, v3, s0
	s_wait_alu 0xfffe
	s_and_not1_b32 exec_lo, exec_lo, s2
	s_cbranch_execnz .LBB3_304
; %bb.305:
	s_or_b32 exec_lo, exec_lo, s2
	v_add_co_u32 v0, vcc_lo, v56, v0
	s_wait_alu 0xfffd
	v_add_co_ci_u32_e64 v1, null, v57, v1, vcc_lo
	s_mov_b32 s2, 0
.LBB3_306:                              ; =>This Inner Loop Header: Depth=1
	v_add_co_u32 v2, vcc_lo, v0, v74
	s_wait_alu 0xfffd
	v_add_co_ci_u32_e64 v3, null, v1, v75, vcc_lo
	v_add_nc_u32_e32 v12, -1, v12
	s_clause 0x1
	flat_load_b32 v6, v[0:1]
	flat_load_b32 v2, v[2:3]
	v_add_co_u32 v0, vcc_lo, v0, -4
	s_wait_alu 0xfffd
	v_add_co_ci_u32_e64 v1, null, -1, v1, vcc_lo
	v_cmp_gt_u32_e32 vcc_lo, 2, v12
	s_wait_alu 0xfffe
	s_or_b32 s2, vcc_lo, s2
	s_wait_loadcnt_dscnt 0x0
	v_and_b32_e32 v2, v2, v6
	flat_store_b32 v[4:5], v2
	v_add_co_u32 v4, s0, v4, -4
	s_wait_alu 0xf1ff
	v_add_co_ci_u32_e64 v5, null, -1, v5, s0
	s_wait_alu 0xfffe
	s_and_not1_b32 exec_lo, exec_lo, s2
	s_cbranch_execnz .LBB3_306
.LBB3_307:
	s_wait_alu 0xfffe
	s_or_b32 exec_lo, exec_lo, s1
	s_mov_b64 s[0:1], src_private_base
	s_getpc_b64 s[2:3]
	s_wait_alu 0xfffe
	s_sext_i32_i16 s3, s3
	s_add_co_u32 s2, s2, _ZN3sop13minatoIsopRecEPKjS1_iPNS_3SopEP7VecsMemIjLi8192EE@rel32@lo+12
	s_wait_alu 0xfffe
	s_add_co_ci_u32 s3, s3, _ZN3sop13minatoIsopRecEPKjS1_iPNS_3SopEP7VecsMemIjLi8192EE@rel32@hi+24
	s_add_co_i32 s0, s33, 0x80
	v_dual_mov_b32 v0, v41 :: v_dual_mov_b32 v1, v42
	v_dual_mov_b32 v2, v40 :: v_dual_mov_b32 v3, v72
	s_wait_alu 0xfffe
	v_dual_mov_b32 v4, v63 :: v_dual_mov_b32 v5, s0
	v_dual_mov_b32 v6, s1 :: v_dual_mov_b32 v7, v43
	v_mov_b32_e32 v8, v44
	s_mov_b64 s[8:9], s[34:35]
	s_wait_alu 0xfffe
	s_swappc_b64 s[30:31], s[2:3]
	s_clause 0x2
	scratch_load_b64 v[67:68], off, s33 offset:96
	scratch_load_b64 v[64:65], off, s33 offset:112
	;; [unrolled: 1-line block ×3, first 2 shown]
	s_mov_b32 s17, 0
	s_mov_b32 s0, -1
	s_mov_b32 s20, s70
	s_mov_b32 s18, exec_lo
	s_wait_loadcnt 0x1
	v_add_nc_u32_e32 v2, v65, v68
	s_delay_alu instid0(VALU_DEP_1)
	v_add_nc_u32_e32 v4, v2, v67
	v_mov_b32_e32 v66, 0
	v_mov_b32_e32 v67, 0
	s_wait_loadcnt 0x0
	v_add_nc_u32_e32 v3, v2, v55
	v_add3_u32 v2, v4, v64, v54
	flat_store_b64 v[45:46], v[2:3]
	v_cmpx_lt_i32_e32 0, v3
	s_cbranch_execz .LBB3_454
; %bb.308:
	flat_load_b32 v2, v[43:44]
	v_mov_b32_e32 v66, 0
	s_mov_b32 s19, 0
	s_mov_b32 s0, exec_lo
	s_wait_loadcnt_dscnt 0x0
	v_dual_mov_b32 v67, 0 :: v_dual_add_nc_u32 v4, v2, v3
	s_delay_alu instid0(VALU_DEP_1)
	v_cmpx_gt_i32_e32 0x2001, v4
	s_wait_alu 0xfffe
	s_xor_b32 s0, exec_lo, s0
	s_cbranch_execz .LBB3_310
; %bb.309:
	v_ashrrev_i32_e32 v5, 31, v4
	v_dual_mov_b32 v7, 0 :: v_dual_mov_b32 v6, v3
	s_mov_b32 s19, exec_lo
	flat_store_b32 v[43:44], v4
	v_lshlrev_b64_e32 v[2:3], 2, v[4:5]
	v_lshlrev_b64_e32 v[5:6], 2, v[6:7]
	s_delay_alu instid0(VALU_DEP_2) | instskip(SKIP_1) | instid1(VALU_DEP_3)
	v_add_co_u32 v2, vcc_lo, v43, v2
	s_wait_alu 0xfffd
	v_add_co_ci_u32_e64 v3, null, v44, v3, vcc_lo
	s_delay_alu instid0(VALU_DEP_2) | instskip(SKIP_1) | instid1(VALU_DEP_2)
	v_sub_co_u32 v2, vcc_lo, v2, v5
	s_wait_alu 0xfffd
	v_sub_co_ci_u32_e64 v3, null, v3, v6, vcc_lo
	s_delay_alu instid0(VALU_DEP_2) | instskip(SKIP_1) | instid1(VALU_DEP_2)
	v_add_co_u32 v66, vcc_lo, v2, 4
	s_wait_alu 0xfffd
	v_add_co_ci_u32_e64 v67, null, 0, v3, vcc_lo
.LBB3_310:
	s_wait_alu 0xfffe
	s_or_saveexec_b32 s20, s0
	s_mov_b32 s0, s70
	s_wait_alu 0xfffe
	s_xor_b32 exec_lo, exec_lo, s20
	s_cbranch_execz .LBB3_453
; %bb.311:
	s_load_b64 s[2:3], s[34:35], 0x50
	v_mbcnt_lo_u32_b32 v33, -1, 0
	v_mov_b32_e32 v8, 0
	v_mov_b32_e32 v9, 0
	s_mov_b64 s[8:9], s[34:35]
	s_delay_alu instid0(VALU_DEP_3) | instskip(SKIP_1) | instid1(VALU_DEP_1)
	v_readfirstlane_b32 s0, v33
	s_wait_alu 0xf1ff
	v_cmp_eq_u32_e64 s0, s0, v33
	s_and_saveexec_b32 s1, s0
	s_cbranch_execz .LBB3_317
; %bb.312:
	v_mov_b32_e32 v2, 0
	s_mov_b32 s4, exec_lo
	s_wait_kmcnt 0x0
	global_load_b64 v[5:6], v2, s[2:3] offset:24 scope:SCOPE_SYS
	s_wait_loadcnt 0x0
	global_inv scope:SCOPE_SYS
	s_clause 0x1
	global_load_b64 v[3:4], v2, s[2:3] offset:40
	global_load_b64 v[7:8], v2, s[2:3]
	s_wait_loadcnt 0x1
	v_and_b32_e32 v4, v4, v6
	v_and_b32_e32 v3, v3, v5
	s_delay_alu instid0(VALU_DEP_2) | instskip(NEXT) | instid1(VALU_DEP_2)
	v_mul_lo_u32 v4, 24, v4
	v_mul_lo_u32 v9, 0, v3
	v_mul_hi_u32 v10, 24, v3
	v_mul_lo_u32 v3, 24, v3
	s_delay_alu instid0(VALU_DEP_3) | instskip(SKIP_1) | instid1(VALU_DEP_2)
	v_add_nc_u32_e32 v4, v4, v9
	s_wait_loadcnt 0x0
	v_add_co_u32 v3, vcc_lo, v7, v3
	s_delay_alu instid0(VALU_DEP_2) | instskip(SKIP_1) | instid1(VALU_DEP_1)
	v_add_nc_u32_e32 v4, v4, v10
	s_wait_alu 0xfffd
	v_add_co_ci_u32_e64 v4, null, v8, v4, vcc_lo
	global_load_b64 v[3:4], v[3:4], off scope:SCOPE_SYS
	s_wait_loadcnt 0x0
	global_atomic_cmpswap_b64 v[8:9], v2, v[3:6], s[2:3] offset:24 th:TH_ATOMIC_RETURN scope:SCOPE_SYS
	s_wait_loadcnt 0x0
	global_inv scope:SCOPE_SYS
	v_cmpx_ne_u64_e64 v[8:9], v[5:6]
	s_cbranch_execz .LBB3_316
; %bb.313:
	s_mov_b32 s5, 0
.LBB3_314:                              ; =>This Inner Loop Header: Depth=1
	s_sleep 1
	s_clause 0x1
	global_load_b64 v[3:4], v2, s[2:3] offset:40
	global_load_b64 v[10:11], v2, s[2:3]
	v_dual_mov_b32 v5, v8 :: v_dual_mov_b32 v6, v9
	s_wait_loadcnt 0x1
	s_delay_alu instid0(VALU_DEP_1) | instskip(NEXT) | instid1(VALU_DEP_2)
	v_and_b32_e32 v3, v3, v5
	v_and_b32_e32 v4, v4, v6
	s_wait_loadcnt 0x0
	s_delay_alu instid0(VALU_DEP_2) | instskip(NEXT) | instid1(VALU_DEP_1)
	v_mad_co_u64_u32 v[7:8], null, v3, 24, v[10:11]
	v_mov_b32_e32 v3, v8
	s_delay_alu instid0(VALU_DEP_1) | instskip(NEXT) | instid1(VALU_DEP_1)
	v_mad_co_u64_u32 v[3:4], null, v4, 24, v[3:4]
	v_mov_b32_e32 v8, v3
	global_load_b64 v[3:4], v[7:8], off scope:SCOPE_SYS
	s_wait_loadcnt 0x0
	global_atomic_cmpswap_b64 v[8:9], v2, v[3:6], s[2:3] offset:24 th:TH_ATOMIC_RETURN scope:SCOPE_SYS
	s_wait_loadcnt 0x0
	global_inv scope:SCOPE_SYS
	v_cmp_eq_u64_e32 vcc_lo, v[8:9], v[5:6]
	s_wait_alu 0xfffe
	s_or_b32 s5, vcc_lo, s5
	s_wait_alu 0xfffe
	s_and_not1_b32 exec_lo, exec_lo, s5
	s_cbranch_execnz .LBB3_314
; %bb.315:
	s_or_b32 exec_lo, exec_lo, s5
.LBB3_316:
	s_wait_alu 0xfffe
	s_or_b32 exec_lo, exec_lo, s4
.LBB3_317:
	s_wait_alu 0xfffe
	s_or_b32 exec_lo, exec_lo, s1
	v_readfirstlane_b32 s4, v8
	v_mov_b32_e32 v7, 0
	v_readfirstlane_b32 s5, v9
	s_mov_b32 s1, exec_lo
	s_wait_kmcnt 0x0
	s_clause 0x1
	global_load_b64 v[10:11], v7, s[2:3] offset:40
	global_load_b128 v[2:5], v7, s[2:3]
	s_wait_loadcnt 0x1
	s_wait_alu 0xf1ff
	v_and_b32_e32 v13, s5, v11
	v_and_b32_e32 v12, s4, v10
	s_delay_alu instid0(VALU_DEP_2) | instskip(NEXT) | instid1(VALU_DEP_2)
	v_mul_lo_u32 v6, 24, v13
	v_mul_lo_u32 v8, 0, v12
	v_mul_hi_u32 v9, 24, v12
	v_mul_lo_u32 v10, 24, v12
	s_delay_alu instid0(VALU_DEP_3) | instskip(SKIP_1) | instid1(VALU_DEP_2)
	v_add_nc_u32_e32 v6, v6, v8
	s_wait_loadcnt 0x0
	v_add_co_u32 v10, vcc_lo, v2, v10
	s_delay_alu instid0(VALU_DEP_2) | instskip(SKIP_1) | instid1(VALU_DEP_1)
	v_add_nc_u32_e32 v6, v6, v9
	s_wait_alu 0xfffd
	v_add_co_ci_u32_e64 v11, null, v3, v6, vcc_lo
	s_and_saveexec_b32 s6, s0
	s_cbranch_execz .LBB3_319
; %bb.318:
	s_wait_alu 0xfffe
	v_dual_mov_b32 v6, s1 :: v_dual_mov_b32 v9, 1
	v_mov_b32_e32 v8, 2
	global_store_b128 v[10:11], v[6:9], off offset:8
.LBB3_319:
	s_wait_alu 0xfffe
	s_or_b32 exec_lo, exec_lo, s6
	v_lshlrev_b64_e32 v[12:13], 12, v[12:13]
	v_dual_mov_b32 v9, v7 :: v_dual_lshlrev_b32 v32, 6, v33
	s_mov_b32 s12, 0
	s_wait_alu 0xfffe
	s_mov_b32 s15, s12
	s_delay_alu instid0(VALU_DEP_2)
	v_add_co_u32 v4, vcc_lo, v4, v12
	s_wait_alu 0xfffd
	v_add_co_ci_u32_e64 v5, null, v5, v13, vcc_lo
	s_mov_b32 s13, s12
	v_add_co_u32 v12, vcc_lo, v4, v32
	s_mov_b32 s14, s12
	s_wait_alu 0xfffe
	v_dual_mov_b32 v6, 33 :: v_dual_mov_b32 v17, s15
	v_dual_mov_b32 v8, v7 :: v_dual_mov_b32 v15, s13
	v_readfirstlane_b32 s6, v4
	v_readfirstlane_b32 s7, v5
	s_wait_alu 0xfffd
	v_add_co_ci_u32_e64 v13, null, 0, v5, vcc_lo
	v_mov_b32_e32 v16, s14
	v_mov_b32_e32 v14, s12
	s_clause 0x3
	global_store_b128 v32, v[6:9], s[6:7]
	global_store_b128 v32, v[14:17], s[6:7] offset:16
	global_store_b128 v32, v[14:17], s[6:7] offset:32
	;; [unrolled: 1-line block ×3, first 2 shown]
	s_and_saveexec_b32 s1, s0
	s_cbranch_execz .LBB3_327
; %bb.320:
	v_mov_b32_e32 v8, 0
	s_mov_b32 s6, exec_lo
	s_clause 0x1
	global_load_b64 v[16:17], v8, s[2:3] offset:32 scope:SCOPE_SYS
	global_load_b64 v[4:5], v8, s[2:3] offset:40
	v_dual_mov_b32 v15, s5 :: v_dual_mov_b32 v14, s4
	s_wait_loadcnt 0x0
	v_and_b32_e32 v5, s5, v5
	v_and_b32_e32 v4, s4, v4
	s_delay_alu instid0(VALU_DEP_2) | instskip(NEXT) | instid1(VALU_DEP_2)
	v_mul_lo_u32 v5, 24, v5
	v_mul_lo_u32 v6, 0, v4
	v_mul_hi_u32 v7, 24, v4
	v_mul_lo_u32 v4, 24, v4
	s_delay_alu instid0(VALU_DEP_3) | instskip(NEXT) | instid1(VALU_DEP_2)
	v_add_nc_u32_e32 v5, v5, v6
	v_add_co_u32 v6, vcc_lo, v2, v4
	s_delay_alu instid0(VALU_DEP_2) | instskip(SKIP_1) | instid1(VALU_DEP_1)
	v_add_nc_u32_e32 v5, v5, v7
	s_wait_alu 0xfffd
	v_add_co_ci_u32_e64 v7, null, v3, v5, vcc_lo
	global_store_b64 v[6:7], v[16:17], off
	global_wb scope:SCOPE_SYS
	s_wait_storecnt 0x0
	global_atomic_cmpswap_b64 v[4:5], v8, v[14:17], s[2:3] offset:32 th:TH_ATOMIC_RETURN scope:SCOPE_SYS
	s_wait_loadcnt 0x0
	v_cmpx_ne_u64_e64 v[4:5], v[16:17]
	s_cbranch_execz .LBB3_323
; %bb.321:
	s_mov_b32 s7, 0
.LBB3_322:                              ; =>This Inner Loop Header: Depth=1
	v_dual_mov_b32 v2, s4 :: v_dual_mov_b32 v3, s5
	s_sleep 1
	global_store_b64 v[6:7], v[4:5], off
	global_wb scope:SCOPE_SYS
	s_wait_storecnt 0x0
	global_atomic_cmpswap_b64 v[2:3], v8, v[2:5], s[2:3] offset:32 th:TH_ATOMIC_RETURN scope:SCOPE_SYS
	s_wait_loadcnt 0x0
	v_cmp_eq_u64_e32 vcc_lo, v[2:3], v[4:5]
	v_dual_mov_b32 v5, v3 :: v_dual_mov_b32 v4, v2
	s_wait_alu 0xfffe
	s_or_b32 s7, vcc_lo, s7
	s_wait_alu 0xfffe
	s_and_not1_b32 exec_lo, exec_lo, s7
	s_cbranch_execnz .LBB3_322
.LBB3_323:
	s_wait_alu 0xfffe
	s_or_b32 exec_lo, exec_lo, s6
	v_mov_b32_e32 v5, 0
	s_mov_b32 s7, exec_lo
	s_mov_b32 s6, exec_lo
	s_wait_alu 0xfffe
	v_mbcnt_lo_u32_b32 v4, s7, 0
	global_load_b64 v[2:3], v5, s[2:3] offset:16
	v_cmpx_eq_u32_e32 0, v4
	s_cbranch_execz .LBB3_325
; %bb.324:
	s_bcnt1_i32_b32 s7, s7
	s_wait_alu 0xfffe
	v_mov_b32_e32 v4, s7
	global_wb scope:SCOPE_SYS
	s_wait_loadcnt 0x0
	s_wait_storecnt 0x0
	global_atomic_add_u64 v[2:3], v[4:5], off offset:8 scope:SCOPE_SYS
.LBB3_325:
	s_or_b32 exec_lo, exec_lo, s6
	s_wait_loadcnt 0x0
	global_load_b64 v[4:5], v[2:3], off offset:16
	s_wait_loadcnt 0x0
	v_cmp_eq_u64_e32 vcc_lo, 0, v[4:5]
	s_cbranch_vccnz .LBB3_327
; %bb.326:
	global_load_b32 v2, v[2:3], off offset:24
	v_mov_b32_e32 v3, 0
	s_wait_loadcnt 0x0
	v_readfirstlane_b32 s6, v2
	global_wb scope:SCOPE_SYS
	s_wait_storecnt 0x0
	global_store_b64 v[4:5], v[2:3], off scope:SCOPE_SYS
	s_and_b32 m0, s6, 0xffffff
	s_sendmsg sendmsg(MSG_INTERRUPT)
.LBB3_327:
	s_wait_alu 0xfffe
	s_or_b32 exec_lo, exec_lo, s1
	s_branch .LBB3_331
.LBB3_328:                              ;   in Loop: Header=BB3_331 Depth=1
	s_wait_alu 0xfffe
	s_or_b32 exec_lo, exec_lo, s1
	s_delay_alu instid0(VALU_DEP_1)
	v_readfirstlane_b32 s1, v2
	s_cmp_eq_u32 s1, 0
	s_cbranch_scc1 .LBB3_330
; %bb.329:                              ;   in Loop: Header=BB3_331 Depth=1
	s_sleep 1
	s_cbranch_execnz .LBB3_331
	s_branch .LBB3_333
.LBB3_330:
	s_branch .LBB3_333
.LBB3_331:                              ; =>This Inner Loop Header: Depth=1
	v_mov_b32_e32 v2, 1
	s_and_saveexec_b32 s1, s0
	s_cbranch_execz .LBB3_328
; %bb.332:                              ;   in Loop: Header=BB3_331 Depth=1
	global_load_b32 v2, v[10:11], off offset:20 scope:SCOPE_SYS
	s_wait_loadcnt 0x0
	global_inv scope:SCOPE_SYS
	v_and_b32_e32 v2, 1, v2
	s_branch .LBB3_328
.LBB3_333:
	global_load_b64 v[2:3], v[12:13], off
	s_and_saveexec_b32 s6, s0
	s_cbranch_execz .LBB3_337
; %bb.334:
	v_mov_b32_e32 v10, 0
	s_clause 0x2
	global_load_b64 v[4:5], v10, s[2:3] offset:40
	global_load_b64 v[13:14], v10, s[2:3] offset:24 scope:SCOPE_SYS
	global_load_b64 v[6:7], v10, s[2:3]
	s_wait_loadcnt 0x2
	v_readfirstlane_b32 s10, v4
	v_readfirstlane_b32 s11, v5
	s_add_nc_u64 s[0:1], s[10:11], 1
	s_wait_alu 0xfffe
	s_add_nc_u64 s[4:5], s[0:1], s[4:5]
	s_wait_alu 0xfffe
	s_cmp_eq_u64 s[4:5], 0
	s_cselect_b32 s1, s1, s5
	s_cselect_b32 s0, s0, s4
	s_wait_alu 0xfffe
	v_mov_b32_e32 v12, s1
	s_and_b64 s[4:5], s[0:1], s[10:11]
	v_mov_b32_e32 v11, s0
	s_wait_alu 0xfffe
	s_mul_u64 s[4:5], s[4:5], 24
	s_wait_loadcnt 0x0
	s_wait_alu 0xfffe
	v_add_co_u32 v8, vcc_lo, v6, s4
	s_wait_alu 0xfffd
	v_add_co_ci_u32_e64 v9, null, s5, v7, vcc_lo
	global_store_b64 v[8:9], v[13:14], off
	global_wb scope:SCOPE_SYS
	s_wait_storecnt 0x0
	global_atomic_cmpswap_b64 v[6:7], v10, v[11:14], s[2:3] offset:24 th:TH_ATOMIC_RETURN scope:SCOPE_SYS
	s_wait_loadcnt 0x0
	v_cmp_ne_u64_e32 vcc_lo, v[6:7], v[13:14]
	s_and_b32 exec_lo, exec_lo, vcc_lo
	s_cbranch_execz .LBB3_337
; %bb.335:
	s_mov_b32 s4, 0
.LBB3_336:                              ; =>This Inner Loop Header: Depth=1
	v_dual_mov_b32 v4, s0 :: v_dual_mov_b32 v5, s1
	s_sleep 1
	global_store_b64 v[8:9], v[6:7], off
	global_wb scope:SCOPE_SYS
	s_wait_storecnt 0x0
	global_atomic_cmpswap_b64 v[4:5], v10, v[4:7], s[2:3] offset:24 th:TH_ATOMIC_RETURN scope:SCOPE_SYS
	s_wait_loadcnt 0x0
	v_cmp_eq_u64_e32 vcc_lo, v[4:5], v[6:7]
	v_dual_mov_b32 v7, v5 :: v_dual_mov_b32 v6, v4
	s_wait_alu 0xfffe
	s_or_b32 s4, vcc_lo, s4
	s_wait_alu 0xfffe
	s_and_not1_b32 exec_lo, exec_lo, s4
	s_cbranch_execnz .LBB3_336
.LBB3_337:
	s_wait_alu 0xfffe
	s_or_b32 exec_lo, exec_lo, s6
	s_getpc_b64 s[4:5]
	s_wait_alu 0xfffe
	s_sext_i32_i16 s5, s5
	s_add_co_u32 s4, s4, .str.28@rel32@lo+12
	s_wait_alu 0xfffe
	s_add_co_ci_u32 s5, s5, .str.28@rel32@hi+24
	s_wait_alu 0xfffe
	s_cmp_lg_u64 s[4:5], 0
	s_cbranch_scc0 .LBB3_423
; %bb.338:
	s_wait_loadcnt 0x0
	v_dual_mov_b32 v9, v3 :: v_dual_and_b32 v8, -3, v2
	v_dual_mov_b32 v5, 0 :: v_dual_mov_b32 v6, 2
	v_mov_b32_e32 v7, 1
	s_mov_b64 s[6:7], 35
	s_branch .LBB3_340
.LBB3_339:                              ;   in Loop: Header=BB3_340 Depth=1
	s_wait_alu 0xfffe
	s_or_b32 exec_lo, exec_lo, s14
	s_sub_nc_u64 s[6:7], s[6:7], s[10:11]
	s_add_nc_u64 s[4:5], s[4:5], s[10:11]
	s_wait_alu 0xfffe
	s_cmp_lg_u64 s[6:7], 0
	s_cbranch_scc0 .LBB3_422
.LBB3_340:                              ; =>This Loop Header: Depth=1
                                        ;     Child Loop BB3_343 Depth 2
                                        ;     Child Loop BB3_351 Depth 2
	;; [unrolled: 1-line block ×11, first 2 shown]
	s_wait_alu 0xfffe
	v_cmp_lt_u64_e64 s0, s[6:7], 56
	v_cmp_gt_u64_e64 s1, s[6:7], 7
	s_and_b32 s0, s0, exec_lo
	s_cselect_b32 s11, s7, 0
	s_cselect_b32 s10, s6, 56
	s_and_b32 vcc_lo, exec_lo, s1
	s_wait_alu 0xfffe
	s_cbranch_vccnz .LBB3_345
; %bb.341:                              ;   in Loop: Header=BB3_340 Depth=1
	s_wait_loadcnt 0x0
	v_mov_b32_e32 v10, 0
	v_mov_b32_e32 v11, 0
	s_cmp_eq_u64 s[6:7], 0
	s_cbranch_scc1 .LBB3_344
; %bb.342:                              ;   in Loop: Header=BB3_340 Depth=1
	s_mov_b64 s[0:1], 0
	s_mov_b64 s[12:13], 0
.LBB3_343:                              ;   Parent Loop BB3_340 Depth=1
                                        ; =>  This Inner Loop Header: Depth=2
	s_wait_alu 0xfffe
	s_add_nc_u64 s[14:15], s[4:5], s[12:13]
	s_add_nc_u64 s[12:13], s[12:13], 1
	global_load_u8 v4, v5, s[14:15]
	s_wait_alu 0xfffe
	s_cmp_lg_u32 s10, s12
	s_wait_loadcnt 0x0
	v_and_b32_e32 v4, 0xffff, v4
	s_delay_alu instid0(VALU_DEP_1) | instskip(SKIP_1) | instid1(VALU_DEP_1)
	v_lshlrev_b64_e32 v[12:13], s0, v[4:5]
	s_add_nc_u64 s[0:1], s[0:1], 8
	v_or_b32_e32 v10, v12, v10
	s_delay_alu instid0(VALU_DEP_2)
	v_or_b32_e32 v11, v13, v11
	s_cbranch_scc1 .LBB3_343
.LBB3_344:                              ;   in Loop: Header=BB3_340 Depth=1
	s_mov_b32 s0, 0
	s_mov_b64 s[12:13], s[4:5]
	s_branch .LBB3_346
.LBB3_345:                              ;   in Loop: Header=BB3_340 Depth=1
	s_add_nc_u64 s[12:13], s[4:5], 8
	s_mov_b32 s0, -1
.LBB3_346:                              ;   in Loop: Header=BB3_340 Depth=1
	s_wait_alu 0xfffe
	s_and_not1_b32 vcc_lo, exec_lo, s0
	s_mov_b32 s16, 0
	s_wait_alu 0xfffe
	s_cbranch_vccnz .LBB3_348
; %bb.347:                              ;   in Loop: Header=BB3_340 Depth=1
	s_wait_loadcnt 0x0
	global_load_b64 v[10:11], v5, s[4:5]
	s_add_co_i32 s16, s10, -8
.LBB3_348:                              ;   in Loop: Header=BB3_340 Depth=1
	s_wait_alu 0xfffe
	s_cmp_gt_u32 s16, 7
	s_cbranch_scc1 .LBB3_353
; %bb.349:                              ;   in Loop: Header=BB3_340 Depth=1
	v_mov_b32_e32 v12, 0
	v_mov_b32_e32 v13, 0
	s_cmp_eq_u32 s16, 0
	s_cbranch_scc1 .LBB3_352
; %bb.350:                              ;   in Loop: Header=BB3_340 Depth=1
	s_mov_b64 s[0:1], 0
	s_mov_b64 s[14:15], 0
.LBB3_351:                              ;   Parent Loop BB3_340 Depth=1
                                        ; =>  This Inner Loop Header: Depth=2
	s_wait_alu 0xfffe
	s_add_nc_u64 s[22:23], s[12:13], s[14:15]
	s_add_nc_u64 s[14:15], s[14:15], 1
	global_load_u8 v4, v5, s[22:23]
	s_wait_alu 0xfffe
	s_cmp_lg_u32 s16, s14
	s_wait_loadcnt 0x0
	v_and_b32_e32 v4, 0xffff, v4
	s_delay_alu instid0(VALU_DEP_1) | instskip(SKIP_1) | instid1(VALU_DEP_1)
	v_lshlrev_b64_e32 v[14:15], s0, v[4:5]
	s_add_nc_u64 s[0:1], s[0:1], 8
	v_or_b32_e32 v12, v14, v12
	s_delay_alu instid0(VALU_DEP_2)
	v_or_b32_e32 v13, v15, v13
	s_cbranch_scc1 .LBB3_351
.LBB3_352:                              ;   in Loop: Header=BB3_340 Depth=1
	s_mov_b32 s14, 0
	s_mov_b64 s[0:1], s[12:13]
	s_branch .LBB3_354
.LBB3_353:                              ;   in Loop: Header=BB3_340 Depth=1
	s_add_nc_u64 s[0:1], s[12:13], 8
	s_mov_b32 s14, -1
                                        ; implicit-def: $vgpr12_vgpr13
.LBB3_354:                              ;   in Loop: Header=BB3_340 Depth=1
	s_wait_alu 0xfffe
	s_and_not1_b32 vcc_lo, exec_lo, s14
	s_mov_b32 s21, 0
	s_wait_alu 0xfffe
	s_cbranch_vccnz .LBB3_356
; %bb.355:                              ;   in Loop: Header=BB3_340 Depth=1
	global_load_b64 v[12:13], v5, s[12:13]
	s_add_co_i32 s21, s16, -8
.LBB3_356:                              ;   in Loop: Header=BB3_340 Depth=1
	s_wait_alu 0xfffe
	s_cmp_gt_u32 s21, 7
	s_cbranch_scc1 .LBB3_361
; %bb.357:                              ;   in Loop: Header=BB3_340 Depth=1
	v_mov_b32_e32 v14, 0
	v_mov_b32_e32 v15, 0
	s_cmp_eq_u32 s21, 0
	s_cbranch_scc1 .LBB3_360
; %bb.358:                              ;   in Loop: Header=BB3_340 Depth=1
	s_mov_b64 s[12:13], 0
	s_mov_b64 s[14:15], 0
.LBB3_359:                              ;   Parent Loop BB3_340 Depth=1
                                        ; =>  This Inner Loop Header: Depth=2
	s_wait_alu 0xfffe
	s_add_nc_u64 s[22:23], s[0:1], s[14:15]
	s_add_nc_u64 s[14:15], s[14:15], 1
	global_load_u8 v4, v5, s[22:23]
	s_wait_alu 0xfffe
	s_cmp_lg_u32 s21, s14
	s_wait_loadcnt 0x0
	v_and_b32_e32 v4, 0xffff, v4
	s_delay_alu instid0(VALU_DEP_1) | instskip(SKIP_1) | instid1(VALU_DEP_1)
	v_lshlrev_b64_e32 v[16:17], s12, v[4:5]
	s_add_nc_u64 s[12:13], s[12:13], 8
	v_or_b32_e32 v14, v16, v14
	s_delay_alu instid0(VALU_DEP_2)
	v_or_b32_e32 v15, v17, v15
	s_cbranch_scc1 .LBB3_359
.LBB3_360:                              ;   in Loop: Header=BB3_340 Depth=1
	s_mov_b32 s14, 0
	s_mov_b64 s[12:13], s[0:1]
	s_branch .LBB3_362
.LBB3_361:                              ;   in Loop: Header=BB3_340 Depth=1
	s_add_nc_u64 s[12:13], s[0:1], 8
	s_mov_b32 s14, -1
.LBB3_362:                              ;   in Loop: Header=BB3_340 Depth=1
	s_wait_alu 0xfffe
	s_and_not1_b32 vcc_lo, exec_lo, s14
	s_mov_b32 s16, 0
	s_wait_alu 0xfffe
	s_cbranch_vccnz .LBB3_364
; %bb.363:                              ;   in Loop: Header=BB3_340 Depth=1
	global_load_b64 v[14:15], v5, s[0:1]
	s_add_co_i32 s16, s21, -8
.LBB3_364:                              ;   in Loop: Header=BB3_340 Depth=1
	s_wait_alu 0xfffe
	s_cmp_gt_u32 s16, 7
	s_cbranch_scc1 .LBB3_369
; %bb.365:                              ;   in Loop: Header=BB3_340 Depth=1
	v_mov_b32_e32 v16, 0
	v_mov_b32_e32 v17, 0
	s_cmp_eq_u32 s16, 0
	s_cbranch_scc1 .LBB3_368
; %bb.366:                              ;   in Loop: Header=BB3_340 Depth=1
	s_mov_b64 s[0:1], 0
	s_mov_b64 s[14:15], 0
.LBB3_367:                              ;   Parent Loop BB3_340 Depth=1
                                        ; =>  This Inner Loop Header: Depth=2
	s_wait_alu 0xfffe
	s_add_nc_u64 s[22:23], s[12:13], s[14:15]
	s_add_nc_u64 s[14:15], s[14:15], 1
	global_load_u8 v4, v5, s[22:23]
	s_wait_alu 0xfffe
	s_cmp_lg_u32 s16, s14
	s_wait_loadcnt 0x0
	v_and_b32_e32 v4, 0xffff, v4
	s_delay_alu instid0(VALU_DEP_1) | instskip(SKIP_1) | instid1(VALU_DEP_1)
	v_lshlrev_b64_e32 v[18:19], s0, v[4:5]
	s_add_nc_u64 s[0:1], s[0:1], 8
	v_or_b32_e32 v16, v18, v16
	s_delay_alu instid0(VALU_DEP_2)
	v_or_b32_e32 v17, v19, v17
	s_cbranch_scc1 .LBB3_367
.LBB3_368:                              ;   in Loop: Header=BB3_340 Depth=1
	s_mov_b32 s14, 0
	s_mov_b64 s[0:1], s[12:13]
	s_branch .LBB3_370
.LBB3_369:                              ;   in Loop: Header=BB3_340 Depth=1
	s_add_nc_u64 s[0:1], s[12:13], 8
	s_mov_b32 s14, -1
                                        ; implicit-def: $vgpr16_vgpr17
.LBB3_370:                              ;   in Loop: Header=BB3_340 Depth=1
	s_wait_alu 0xfffe
	s_and_not1_b32 vcc_lo, exec_lo, s14
	s_mov_b32 s21, 0
	s_wait_alu 0xfffe
	s_cbranch_vccnz .LBB3_372
; %bb.371:                              ;   in Loop: Header=BB3_340 Depth=1
	global_load_b64 v[16:17], v5, s[12:13]
	s_add_co_i32 s21, s16, -8
.LBB3_372:                              ;   in Loop: Header=BB3_340 Depth=1
	s_wait_alu 0xfffe
	s_cmp_gt_u32 s21, 7
	s_cbranch_scc1 .LBB3_377
; %bb.373:                              ;   in Loop: Header=BB3_340 Depth=1
	v_mov_b32_e32 v18, 0
	v_mov_b32_e32 v19, 0
	s_cmp_eq_u32 s21, 0
	s_cbranch_scc1 .LBB3_376
; %bb.374:                              ;   in Loop: Header=BB3_340 Depth=1
	s_mov_b64 s[12:13], 0
	s_mov_b64 s[14:15], 0
.LBB3_375:                              ;   Parent Loop BB3_340 Depth=1
                                        ; =>  This Inner Loop Header: Depth=2
	s_wait_alu 0xfffe
	s_add_nc_u64 s[22:23], s[0:1], s[14:15]
	s_add_nc_u64 s[14:15], s[14:15], 1
	global_load_u8 v4, v5, s[22:23]
	s_wait_alu 0xfffe
	s_cmp_lg_u32 s21, s14
	s_wait_loadcnt 0x0
	v_and_b32_e32 v4, 0xffff, v4
	s_delay_alu instid0(VALU_DEP_1) | instskip(SKIP_1) | instid1(VALU_DEP_1)
	v_lshlrev_b64_e32 v[20:21], s12, v[4:5]
	s_add_nc_u64 s[12:13], s[12:13], 8
	v_or_b32_e32 v18, v20, v18
	s_delay_alu instid0(VALU_DEP_2)
	v_or_b32_e32 v19, v21, v19
	s_cbranch_scc1 .LBB3_375
.LBB3_376:                              ;   in Loop: Header=BB3_340 Depth=1
	s_mov_b32 s14, 0
	s_mov_b64 s[12:13], s[0:1]
	s_branch .LBB3_378
.LBB3_377:                              ;   in Loop: Header=BB3_340 Depth=1
	s_add_nc_u64 s[12:13], s[0:1], 8
	s_mov_b32 s14, -1
.LBB3_378:                              ;   in Loop: Header=BB3_340 Depth=1
	s_wait_alu 0xfffe
	s_and_not1_b32 vcc_lo, exec_lo, s14
	s_mov_b32 s16, 0
	s_wait_alu 0xfffe
	s_cbranch_vccnz .LBB3_380
; %bb.379:                              ;   in Loop: Header=BB3_340 Depth=1
	global_load_b64 v[18:19], v5, s[0:1]
	s_add_co_i32 s16, s21, -8
.LBB3_380:                              ;   in Loop: Header=BB3_340 Depth=1
	s_wait_alu 0xfffe
	s_cmp_gt_u32 s16, 7
	s_cbranch_scc1 .LBB3_385
; %bb.381:                              ;   in Loop: Header=BB3_340 Depth=1
	v_mov_b32_e32 v20, 0
	v_mov_b32_e32 v21, 0
	s_cmp_eq_u32 s16, 0
	s_cbranch_scc1 .LBB3_384
; %bb.382:                              ;   in Loop: Header=BB3_340 Depth=1
	s_mov_b64 s[0:1], 0
	s_mov_b64 s[14:15], 0
.LBB3_383:                              ;   Parent Loop BB3_340 Depth=1
                                        ; =>  This Inner Loop Header: Depth=2
	s_wait_alu 0xfffe
	s_add_nc_u64 s[22:23], s[12:13], s[14:15]
	s_add_nc_u64 s[14:15], s[14:15], 1
	global_load_u8 v4, v5, s[22:23]
	s_wait_alu 0xfffe
	s_cmp_lg_u32 s16, s14
	s_wait_loadcnt 0x0
	v_and_b32_e32 v4, 0xffff, v4
	s_delay_alu instid0(VALU_DEP_1) | instskip(SKIP_1) | instid1(VALU_DEP_1)
	v_lshlrev_b64_e32 v[22:23], s0, v[4:5]
	s_add_nc_u64 s[0:1], s[0:1], 8
	v_or_b32_e32 v20, v22, v20
	s_delay_alu instid0(VALU_DEP_2)
	v_or_b32_e32 v21, v23, v21
	s_cbranch_scc1 .LBB3_383
.LBB3_384:                              ;   in Loop: Header=BB3_340 Depth=1
	s_mov_b32 s14, 0
	s_mov_b64 s[0:1], s[12:13]
	s_branch .LBB3_386
.LBB3_385:                              ;   in Loop: Header=BB3_340 Depth=1
	s_add_nc_u64 s[0:1], s[12:13], 8
	s_mov_b32 s14, -1
                                        ; implicit-def: $vgpr20_vgpr21
.LBB3_386:                              ;   in Loop: Header=BB3_340 Depth=1
	s_wait_alu 0xfffe
	s_and_not1_b32 vcc_lo, exec_lo, s14
	s_mov_b32 s21, 0
	s_wait_alu 0xfffe
	s_cbranch_vccnz .LBB3_388
; %bb.387:                              ;   in Loop: Header=BB3_340 Depth=1
	global_load_b64 v[20:21], v5, s[12:13]
	s_add_co_i32 s21, s16, -8
.LBB3_388:                              ;   in Loop: Header=BB3_340 Depth=1
	s_wait_alu 0xfffe
	s_cmp_gt_u32 s21, 7
	s_cbranch_scc1 .LBB3_393
; %bb.389:                              ;   in Loop: Header=BB3_340 Depth=1
	v_mov_b32_e32 v22, 0
	v_mov_b32_e32 v23, 0
	s_cmp_eq_u32 s21, 0
	s_cbranch_scc1 .LBB3_392
; %bb.390:                              ;   in Loop: Header=BB3_340 Depth=1
	s_mov_b64 s[12:13], 0
	s_mov_b64 s[14:15], s[0:1]
.LBB3_391:                              ;   Parent Loop BB3_340 Depth=1
                                        ; =>  This Inner Loop Header: Depth=2
	global_load_u8 v4, v5, s[14:15]
	s_add_co_i32 s21, s21, -1
	s_wait_alu 0xfffe
	s_add_nc_u64 s[14:15], s[14:15], 1
	s_cmp_lg_u32 s21, 0
	s_wait_loadcnt 0x0
	v_and_b32_e32 v4, 0xffff, v4
	s_delay_alu instid0(VALU_DEP_1) | instskip(SKIP_1) | instid1(VALU_DEP_1)
	v_lshlrev_b64_e32 v[24:25], s12, v[4:5]
	s_add_nc_u64 s[12:13], s[12:13], 8
	v_or_b32_e32 v22, v24, v22
	s_delay_alu instid0(VALU_DEP_2)
	v_or_b32_e32 v23, v25, v23
	s_cbranch_scc1 .LBB3_391
.LBB3_392:                              ;   in Loop: Header=BB3_340 Depth=1
	s_mov_b32 s12, 0
	s_branch .LBB3_394
.LBB3_393:                              ;   in Loop: Header=BB3_340 Depth=1
	s_mov_b32 s12, -1
.LBB3_394:                              ;   in Loop: Header=BB3_340 Depth=1
	s_wait_alu 0xfffe
	s_and_not1_b32 vcc_lo, exec_lo, s12
	s_wait_alu 0xfffe
	s_cbranch_vccnz .LBB3_396
; %bb.395:                              ;   in Loop: Header=BB3_340 Depth=1
	global_load_b64 v[22:23], v5, s[0:1]
.LBB3_396:                              ;   in Loop: Header=BB3_340 Depth=1
	v_readfirstlane_b32 s0, v33
	v_mov_b32_e32 v28, 0
	v_mov_b32_e32 v29, 0
	s_wait_alu 0xf1ff
	s_delay_alu instid0(VALU_DEP_3)
	v_cmp_eq_u32_e64 s0, s0, v33
	s_and_saveexec_b32 s1, s0
	s_cbranch_execz .LBB3_402
; %bb.397:                              ;   in Loop: Header=BB3_340 Depth=1
	global_load_b64 v[26:27], v5, s[2:3] offset:24 scope:SCOPE_SYS
	s_wait_loadcnt 0x0
	global_inv scope:SCOPE_SYS
	s_clause 0x1
	global_load_b64 v[24:25], v5, s[2:3] offset:40
	global_load_b64 v[28:29], v5, s[2:3]
	s_mov_b32 s12, exec_lo
	s_wait_loadcnt 0x1
	v_and_b32_e32 v4, v25, v27
	v_and_b32_e32 v24, v24, v26
	s_delay_alu instid0(VALU_DEP_2) | instskip(NEXT) | instid1(VALU_DEP_2)
	v_mul_lo_u32 v4, 24, v4
	v_mul_lo_u32 v25, 0, v24
	v_mul_hi_u32 v30, 24, v24
	v_mul_lo_u32 v24, 24, v24
	s_delay_alu instid0(VALU_DEP_3) | instskip(SKIP_1) | instid1(VALU_DEP_2)
	v_add_nc_u32_e32 v4, v4, v25
	s_wait_loadcnt 0x0
	v_add_co_u32 v24, vcc_lo, v28, v24
	s_delay_alu instid0(VALU_DEP_2) | instskip(SKIP_1) | instid1(VALU_DEP_1)
	v_add_nc_u32_e32 v4, v4, v30
	s_wait_alu 0xfffd
	v_add_co_ci_u32_e64 v25, null, v29, v4, vcc_lo
	global_load_b64 v[24:25], v[24:25], off scope:SCOPE_SYS
	s_wait_loadcnt 0x0
	global_atomic_cmpswap_b64 v[28:29], v5, v[24:27], s[2:3] offset:24 th:TH_ATOMIC_RETURN scope:SCOPE_SYS
	s_wait_loadcnt 0x0
	global_inv scope:SCOPE_SYS
	v_cmpx_ne_u64_e64 v[28:29], v[26:27]
	s_cbranch_execz .LBB3_401
; %bb.398:                              ;   in Loop: Header=BB3_340 Depth=1
	s_mov_b32 s13, 0
.LBB3_399:                              ;   Parent Loop BB3_340 Depth=1
                                        ; =>  This Inner Loop Header: Depth=2
	s_sleep 1
	s_clause 0x1
	global_load_b64 v[24:25], v5, s[2:3] offset:40
	global_load_b64 v[30:31], v5, s[2:3]
	v_dual_mov_b32 v26, v28 :: v_dual_mov_b32 v27, v29
	s_wait_loadcnt 0x1
	s_delay_alu instid0(VALU_DEP_1) | instskip(NEXT) | instid1(VALU_DEP_2)
	v_and_b32_e32 v4, v24, v26
	v_and_b32_e32 v24, v25, v27
	s_wait_loadcnt 0x0
	s_delay_alu instid0(VALU_DEP_2) | instskip(NEXT) | instid1(VALU_DEP_1)
	v_mad_co_u64_u32 v[28:29], null, v4, 24, v[30:31]
	v_mov_b32_e32 v4, v29
	s_delay_alu instid0(VALU_DEP_1) | instskip(NEXT) | instid1(VALU_DEP_1)
	v_mad_co_u64_u32 v[24:25], null, v24, 24, v[4:5]
	v_mov_b32_e32 v29, v24
	global_load_b64 v[24:25], v[28:29], off scope:SCOPE_SYS
	s_wait_loadcnt 0x0
	global_atomic_cmpswap_b64 v[28:29], v5, v[24:27], s[2:3] offset:24 th:TH_ATOMIC_RETURN scope:SCOPE_SYS
	s_wait_loadcnt 0x0
	global_inv scope:SCOPE_SYS
	v_cmp_eq_u64_e32 vcc_lo, v[28:29], v[26:27]
	s_wait_alu 0xfffe
	s_or_b32 s13, vcc_lo, s13
	s_wait_alu 0xfffe
	s_and_not1_b32 exec_lo, exec_lo, s13
	s_cbranch_execnz .LBB3_399
; %bb.400:                              ;   in Loop: Header=BB3_340 Depth=1
	s_or_b32 exec_lo, exec_lo, s13
.LBB3_401:                              ;   in Loop: Header=BB3_340 Depth=1
	s_wait_alu 0xfffe
	s_or_b32 exec_lo, exec_lo, s12
.LBB3_402:                              ;   in Loop: Header=BB3_340 Depth=1
	s_wait_alu 0xfffe
	s_or_b32 exec_lo, exec_lo, s1
	s_clause 0x1
	global_load_b64 v[30:31], v5, s[2:3] offset:40
	global_load_b128 v[24:27], v5, s[2:3]
	v_readfirstlane_b32 s13, v29
	v_readfirstlane_b32 s12, v28
	s_mov_b32 s1, exec_lo
	s_wait_loadcnt 0x1
	s_wait_alu 0xf1ff
	v_and_b32_e32 v31, s13, v31
	v_and_b32_e32 v30, s12, v30
	s_delay_alu instid0(VALU_DEP_2) | instskip(NEXT) | instid1(VALU_DEP_2)
	v_mul_lo_u32 v4, 24, v31
	v_mul_lo_u32 v28, 0, v30
	v_mul_hi_u32 v29, 24, v30
	v_mul_lo_u32 v34, 24, v30
	s_delay_alu instid0(VALU_DEP_3) | instskip(SKIP_1) | instid1(VALU_DEP_2)
	v_add_nc_u32_e32 v4, v4, v28
	s_wait_loadcnt 0x0
	v_add_co_u32 v28, vcc_lo, v24, v34
	s_delay_alu instid0(VALU_DEP_2) | instskip(SKIP_1) | instid1(VALU_DEP_1)
	v_add_nc_u32_e32 v4, v4, v29
	s_wait_alu 0xfffd
	v_add_co_ci_u32_e64 v29, null, v25, v4, vcc_lo
	s_and_saveexec_b32 s14, s0
	s_cbranch_execz .LBB3_404
; %bb.403:                              ;   in Loop: Header=BB3_340 Depth=1
	s_wait_alu 0xfffe
	v_mov_b32_e32 v4, s1
	global_store_b128 v[28:29], v[4:7], off offset:8
.LBB3_404:                              ;   in Loop: Header=BB3_340 Depth=1
	s_wait_alu 0xfffe
	s_or_b32 exec_lo, exec_lo, s14
	v_cmp_gt_u64_e64 s1, s[6:7], 56
	v_lshlrev_b64_e32 v[30:31], 12, v[30:31]
	v_and_b32_e32 v4, 0xffffff1f, v8
	s_and_b32 s1, s1, exec_lo
	s_delay_alu instid0(VALU_DEP_2)
	v_add_co_u32 v26, vcc_lo, v26, v30
	s_cselect_b32 s1, 0, 2
	s_wait_alu 0xfffd
	v_add_co_ci_u32_e64 v27, null, v27, v31, vcc_lo
	s_wait_alu 0xfffe
	v_or_b32_e32 v4, s1, v4
	s_lshl_b32 s14, s10, 2
	s_wait_alu 0xfffe
	s_add_co_i32 s1, s14, 28
	v_readfirstlane_b32 s14, v26
	v_readfirstlane_b32 s15, v27
	s_wait_alu 0xfffe
	v_and_or_b32 v8, 0x1e0, s1, v4
	s_clause 0x3
	global_store_b128 v32, v[8:11], s[14:15]
	global_store_b128 v32, v[12:15], s[14:15] offset:16
	global_store_b128 v32, v[16:19], s[14:15] offset:32
	;; [unrolled: 1-line block ×3, first 2 shown]
	s_and_saveexec_b32 s1, s0
	s_cbranch_execz .LBB3_412
; %bb.405:                              ;   in Loop: Header=BB3_340 Depth=1
	s_clause 0x1
	global_load_b64 v[16:17], v5, s[2:3] offset:32 scope:SCOPE_SYS
	global_load_b64 v[8:9], v5, s[2:3] offset:40
	v_mov_b32_e32 v14, s12
	s_mov_b32 s14, exec_lo
	s_wait_loadcnt 0x0
	v_dual_mov_b32 v15, s13 :: v_dual_and_b32 v4, s13, v9
	v_and_b32_e32 v8, s12, v8
	s_delay_alu instid0(VALU_DEP_2) | instskip(NEXT) | instid1(VALU_DEP_2)
	v_mul_lo_u32 v4, 24, v4
	v_mul_lo_u32 v9, 0, v8
	v_mul_hi_u32 v10, 24, v8
	v_mul_lo_u32 v8, 24, v8
	s_delay_alu instid0(VALU_DEP_3) | instskip(NEXT) | instid1(VALU_DEP_2)
	v_add_nc_u32_e32 v4, v4, v9
	v_add_co_u32 v12, vcc_lo, v24, v8
	s_delay_alu instid0(VALU_DEP_2) | instskip(SKIP_1) | instid1(VALU_DEP_1)
	v_add_nc_u32_e32 v4, v4, v10
	s_wait_alu 0xfffd
	v_add_co_ci_u32_e64 v13, null, v25, v4, vcc_lo
	global_store_b64 v[12:13], v[16:17], off
	global_wb scope:SCOPE_SYS
	s_wait_storecnt 0x0
	global_atomic_cmpswap_b64 v[10:11], v5, v[14:17], s[2:3] offset:32 th:TH_ATOMIC_RETURN scope:SCOPE_SYS
	s_wait_loadcnt 0x0
	v_cmpx_ne_u64_e64 v[10:11], v[16:17]
	s_cbranch_execz .LBB3_408
; %bb.406:                              ;   in Loop: Header=BB3_340 Depth=1
	s_mov_b32 s15, 0
.LBB3_407:                              ;   Parent Loop BB3_340 Depth=1
                                        ; =>  This Inner Loop Header: Depth=2
	v_dual_mov_b32 v8, s12 :: v_dual_mov_b32 v9, s13
	s_sleep 1
	global_store_b64 v[12:13], v[10:11], off
	global_wb scope:SCOPE_SYS
	s_wait_storecnt 0x0
	global_atomic_cmpswap_b64 v[8:9], v5, v[8:11], s[2:3] offset:32 th:TH_ATOMIC_RETURN scope:SCOPE_SYS
	s_wait_loadcnt 0x0
	v_cmp_eq_u64_e32 vcc_lo, v[8:9], v[10:11]
	v_dual_mov_b32 v11, v9 :: v_dual_mov_b32 v10, v8
	s_wait_alu 0xfffe
	s_or_b32 s15, vcc_lo, s15
	s_wait_alu 0xfffe
	s_and_not1_b32 exec_lo, exec_lo, s15
	s_cbranch_execnz .LBB3_407
.LBB3_408:                              ;   in Loop: Header=BB3_340 Depth=1
	s_wait_alu 0xfffe
	s_or_b32 exec_lo, exec_lo, s14
	global_load_b64 v[8:9], v5, s[2:3] offset:16
	s_mov_b32 s15, exec_lo
	s_mov_b32 s14, exec_lo
	s_wait_alu 0xfffe
	v_mbcnt_lo_u32_b32 v4, s15, 0
	s_delay_alu instid0(VALU_DEP_1)
	v_cmpx_eq_u32_e32 0, v4
	s_cbranch_execz .LBB3_410
; %bb.409:                              ;   in Loop: Header=BB3_340 Depth=1
	s_bcnt1_i32_b32 s15, s15
	s_wait_alu 0xfffe
	v_mov_b32_e32 v4, s15
	global_wb scope:SCOPE_SYS
	s_wait_loadcnt 0x0
	s_wait_storecnt 0x0
	global_atomic_add_u64 v[8:9], v[4:5], off offset:8 scope:SCOPE_SYS
.LBB3_410:                              ;   in Loop: Header=BB3_340 Depth=1
	s_or_b32 exec_lo, exec_lo, s14
	s_wait_loadcnt 0x0
	global_load_b64 v[10:11], v[8:9], off offset:16
	s_wait_loadcnt 0x0
	v_cmp_eq_u64_e32 vcc_lo, 0, v[10:11]
	s_cbranch_vccnz .LBB3_412
; %bb.411:                              ;   in Loop: Header=BB3_340 Depth=1
	global_load_b32 v4, v[8:9], off offset:24
	s_wait_loadcnt 0x0
	v_readfirstlane_b32 s14, v4
	global_wb scope:SCOPE_SYS
	s_wait_storecnt 0x0
	global_store_b64 v[10:11], v[4:5], off scope:SCOPE_SYS
	s_and_b32 m0, s14, 0xffffff
	s_sendmsg sendmsg(MSG_INTERRUPT)
.LBB3_412:                              ;   in Loop: Header=BB3_340 Depth=1
	s_wait_alu 0xfffe
	s_or_b32 exec_lo, exec_lo, s1
	v_add_co_u32 v8, vcc_lo, v26, v32
	s_wait_alu 0xfffd
	v_add_co_ci_u32_e64 v9, null, 0, v27, vcc_lo
	s_branch .LBB3_416
.LBB3_413:                              ;   in Loop: Header=BB3_416 Depth=2
	s_wait_alu 0xfffe
	s_or_b32 exec_lo, exec_lo, s1
	s_delay_alu instid0(VALU_DEP_1)
	v_readfirstlane_b32 s1, v4
	s_cmp_eq_u32 s1, 0
	s_cbranch_scc1 .LBB3_415
; %bb.414:                              ;   in Loop: Header=BB3_416 Depth=2
	s_sleep 1
	s_cbranch_execnz .LBB3_416
	s_branch .LBB3_418
.LBB3_415:                              ;   in Loop: Header=BB3_340 Depth=1
	s_branch .LBB3_418
.LBB3_416:                              ;   Parent Loop BB3_340 Depth=1
                                        ; =>  This Inner Loop Header: Depth=2
	v_mov_b32_e32 v4, 1
	s_and_saveexec_b32 s1, s0
	s_cbranch_execz .LBB3_413
; %bb.417:                              ;   in Loop: Header=BB3_416 Depth=2
	global_load_b32 v4, v[28:29], off offset:20 scope:SCOPE_SYS
	s_wait_loadcnt 0x0
	global_inv scope:SCOPE_SYS
	v_and_b32_e32 v4, 1, v4
	s_branch .LBB3_413
.LBB3_418:                              ;   in Loop: Header=BB3_340 Depth=1
	global_load_b128 v[8:11], v[8:9], off
	s_and_saveexec_b32 s14, s0
	s_cbranch_execz .LBB3_339
; %bb.419:                              ;   in Loop: Header=BB3_340 Depth=1
	s_wait_loadcnt 0x0
	s_clause 0x2
	global_load_b64 v[10:11], v5, s[2:3] offset:40
	global_load_b64 v[18:19], v5, s[2:3] offset:24 scope:SCOPE_SYS
	global_load_b64 v[12:13], v5, s[2:3]
	s_wait_loadcnt 0x2
	v_readfirstlane_b32 s22, v10
	v_readfirstlane_b32 s23, v11
	s_add_nc_u64 s[0:1], s[22:23], 1
	s_wait_alu 0xfffe
	s_add_nc_u64 s[12:13], s[0:1], s[12:13]
	s_wait_alu 0xfffe
	s_cmp_eq_u64 s[12:13], 0
	s_cselect_b32 s1, s1, s13
	s_cselect_b32 s0, s0, s12
	s_wait_alu 0xfffe
	v_dual_mov_b32 v17, s1 :: v_dual_mov_b32 v16, s0
	s_and_b64 s[12:13], s[0:1], s[22:23]
	s_wait_alu 0xfffe
	s_mul_u64 s[12:13], s[12:13], 24
	s_wait_loadcnt 0x0
	s_wait_alu 0xfffe
	v_add_co_u32 v14, vcc_lo, v12, s12
	s_wait_alu 0xfffd
	v_add_co_ci_u32_e64 v15, null, s13, v13, vcc_lo
	global_store_b64 v[14:15], v[18:19], off
	global_wb scope:SCOPE_SYS
	s_wait_storecnt 0x0
	global_atomic_cmpswap_b64 v[12:13], v5, v[16:19], s[2:3] offset:24 th:TH_ATOMIC_RETURN scope:SCOPE_SYS
	s_wait_loadcnt 0x0
	v_cmp_ne_u64_e32 vcc_lo, v[12:13], v[18:19]
	s_and_b32 exec_lo, exec_lo, vcc_lo
	s_cbranch_execz .LBB3_339
; %bb.420:                              ;   in Loop: Header=BB3_340 Depth=1
	s_mov_b32 s12, 0
.LBB3_421:                              ;   Parent Loop BB3_340 Depth=1
                                        ; =>  This Inner Loop Header: Depth=2
	v_dual_mov_b32 v10, s0 :: v_dual_mov_b32 v11, s1
	s_sleep 1
	global_store_b64 v[14:15], v[12:13], off
	global_wb scope:SCOPE_SYS
	s_wait_storecnt 0x0
	global_atomic_cmpswap_b64 v[10:11], v5, v[10:13], s[2:3] offset:24 th:TH_ATOMIC_RETURN scope:SCOPE_SYS
	s_wait_loadcnt 0x0
	v_cmp_eq_u64_e32 vcc_lo, v[10:11], v[12:13]
	v_dual_mov_b32 v13, v11 :: v_dual_mov_b32 v12, v10
	s_wait_alu 0xfffe
	s_or_b32 s12, vcc_lo, s12
	s_wait_alu 0xfffe
	s_and_not1_b32 exec_lo, exec_lo, s12
	s_cbranch_execnz .LBB3_421
	s_branch .LBB3_339
.LBB3_422:
	s_mov_b32 s0, 0
	s_branch .LBB3_424
.LBB3_423:
	s_mov_b32 s0, -1
.LBB3_424:
	v_mov_b32_e32 v54, v1
	v_mov_b32_e32 v64, v0
	s_wait_alu 0xfffe
	s_and_b32 vcc_lo, exec_lo, s0
	s_wait_alu 0xfffe
	s_cbranch_vccz .LBB3_452
; %bb.425:
	v_readfirstlane_b32 s0, v33
	v_mov_b32_e32 v0, 0
	v_mov_b32_e32 v1, 0
	s_wait_alu 0xf1ff
	s_delay_alu instid0(VALU_DEP_3)
	v_cmp_eq_u32_e64 s0, s0, v33
	s_and_saveexec_b32 s1, s0
	s_cbranch_execz .LBB3_431
; %bb.426:
	v_mov_b32_e32 v4, 0
	s_mov_b32 s4, exec_lo
	s_wait_loadcnt 0x0
	global_load_b64 v[7:8], v4, s[2:3] offset:24 scope:SCOPE_SYS
	s_wait_loadcnt 0x0
	global_inv scope:SCOPE_SYS
	s_clause 0x1
	global_load_b64 v[0:1], v4, s[2:3] offset:40
	global_load_b64 v[5:6], v4, s[2:3]
	s_wait_loadcnt 0x1
	v_and_b32_e32 v1, v1, v8
	v_and_b32_e32 v0, v0, v7
	s_delay_alu instid0(VALU_DEP_2) | instskip(NEXT) | instid1(VALU_DEP_2)
	v_mul_lo_u32 v1, 24, v1
	v_mul_lo_u32 v9, 0, v0
	v_mul_hi_u32 v10, 24, v0
	v_mul_lo_u32 v0, 24, v0
	s_delay_alu instid0(VALU_DEP_3) | instskip(SKIP_1) | instid1(VALU_DEP_2)
	v_add_nc_u32_e32 v1, v1, v9
	s_wait_loadcnt 0x0
	v_add_co_u32 v0, vcc_lo, v5, v0
	s_delay_alu instid0(VALU_DEP_2) | instskip(SKIP_1) | instid1(VALU_DEP_1)
	v_add_nc_u32_e32 v1, v1, v10
	s_wait_alu 0xfffd
	v_add_co_ci_u32_e64 v1, null, v6, v1, vcc_lo
	global_load_b64 v[5:6], v[0:1], off scope:SCOPE_SYS
	s_wait_loadcnt 0x0
	global_atomic_cmpswap_b64 v[0:1], v4, v[5:8], s[2:3] offset:24 th:TH_ATOMIC_RETURN scope:SCOPE_SYS
	s_wait_loadcnt 0x0
	global_inv scope:SCOPE_SYS
	v_cmpx_ne_u64_e64 v[0:1], v[7:8]
	s_cbranch_execz .LBB3_430
; %bb.427:
	s_mov_b32 s5, 0
.LBB3_428:                              ; =>This Inner Loop Header: Depth=1
	s_sleep 1
	s_clause 0x1
	global_load_b64 v[5:6], v4, s[2:3] offset:40
	global_load_b64 v[9:10], v4, s[2:3]
	v_dual_mov_b32 v8, v1 :: v_dual_mov_b32 v7, v0
	s_wait_loadcnt 0x1
	s_delay_alu instid0(VALU_DEP_1) | instskip(NEXT) | instid1(VALU_DEP_2)
	v_and_b32_e32 v0, v5, v7
	v_and_b32_e32 v5, v6, v8
	s_wait_loadcnt 0x0
	s_delay_alu instid0(VALU_DEP_2) | instskip(NEXT) | instid1(VALU_DEP_1)
	v_mad_co_u64_u32 v[0:1], null, v0, 24, v[9:10]
	v_mad_co_u64_u32 v[5:6], null, v5, 24, v[1:2]
	s_delay_alu instid0(VALU_DEP_1)
	v_mov_b32_e32 v1, v5
	global_load_b64 v[5:6], v[0:1], off scope:SCOPE_SYS
	s_wait_loadcnt 0x0
	global_atomic_cmpswap_b64 v[0:1], v4, v[5:8], s[2:3] offset:24 th:TH_ATOMIC_RETURN scope:SCOPE_SYS
	s_wait_loadcnt 0x0
	global_inv scope:SCOPE_SYS
	v_cmp_eq_u64_e32 vcc_lo, v[0:1], v[7:8]
	s_wait_alu 0xfffe
	s_or_b32 s5, vcc_lo, s5
	s_wait_alu 0xfffe
	s_and_not1_b32 exec_lo, exec_lo, s5
	s_cbranch_execnz .LBB3_428
; %bb.429:
	s_or_b32 exec_lo, exec_lo, s5
.LBB3_430:
	s_wait_alu 0xfffe
	s_or_b32 exec_lo, exec_lo, s4
.LBB3_431:
	s_wait_alu 0xfffe
	s_or_b32 exec_lo, exec_lo, s1
	v_readfirstlane_b32 s5, v1
	v_mov_b32_e32 v4, 0
	v_readfirstlane_b32 s4, v0
	s_mov_b32 s1, exec_lo
	s_wait_loadcnt 0x0
	s_clause 0x1
	global_load_b64 v[10:11], v4, s[2:3] offset:40
	global_load_b128 v[6:9], v4, s[2:3]
	s_wait_loadcnt 0x1
	s_wait_alu 0xf1ff
	v_and_b32_e32 v1, s5, v11
	v_and_b32_e32 v0, s4, v10
	s_delay_alu instid0(VALU_DEP_2) | instskip(NEXT) | instid1(VALU_DEP_2)
	v_mul_lo_u32 v5, 24, v1
	v_mul_lo_u32 v10, 0, v0
	v_mul_hi_u32 v11, 24, v0
	v_mul_lo_u32 v12, 24, v0
	s_delay_alu instid0(VALU_DEP_3) | instskip(SKIP_1) | instid1(VALU_DEP_2)
	v_add_nc_u32_e32 v5, v5, v10
	s_wait_loadcnt 0x0
	v_add_co_u32 v10, vcc_lo, v6, v12
	s_delay_alu instid0(VALU_DEP_2) | instskip(SKIP_1) | instid1(VALU_DEP_1)
	v_add_nc_u32_e32 v5, v5, v11
	s_wait_alu 0xfffd
	v_add_co_ci_u32_e64 v11, null, v7, v5, vcc_lo
	s_and_saveexec_b32 s6, s0
	s_cbranch_execz .LBB3_433
; %bb.432:
	s_wait_alu 0xfffe
	v_dual_mov_b32 v12, s1 :: v_dual_mov_b32 v13, v4
	v_dual_mov_b32 v14, 2 :: v_dual_mov_b32 v15, 1
	global_store_b128 v[10:11], v[12:15], off offset:8
.LBB3_433:
	s_wait_alu 0xfffe
	s_or_b32 exec_lo, exec_lo, s6
	v_lshlrev_b64_e32 v[0:1], 12, v[0:1]
	s_mov_b32 s12, 0
	v_and_or_b32 v2, 0xffffff1d, v2, 34
	s_wait_alu 0xfffe
	s_mov_b32 s13, s12
	s_mov_b32 s14, s12
	;; [unrolled: 1-line block ×3, first 2 shown]
	v_add_co_u32 v0, vcc_lo, v8, v0
	s_wait_alu 0xfffd
	v_add_co_ci_u32_e64 v1, null, v9, v1, vcc_lo
	v_dual_mov_b32 v5, v4 :: v_dual_mov_b32 v12, s12
	s_delay_alu instid0(VALU_DEP_3) | instskip(NEXT) | instid1(VALU_DEP_3)
	v_readfirstlane_b32 s6, v0
	v_readfirstlane_b32 s7, v1
	s_wait_alu 0xfffe
	v_dual_mov_b32 v13, s13 :: v_dual_mov_b32 v14, s14
	v_mov_b32_e32 v15, s15
	s_clause 0x3
	global_store_b128 v32, v[2:5], s[6:7]
	global_store_b128 v32, v[12:15], s[6:7] offset:16
	global_store_b128 v32, v[12:15], s[6:7] offset:32
	;; [unrolled: 1-line block ×3, first 2 shown]
	s_and_saveexec_b32 s1, s0
	s_cbranch_execz .LBB3_441
; %bb.434:
	v_mov_b32_e32 v8, 0
	s_mov_b32 s6, exec_lo
	s_clause 0x1
	global_load_b64 v[14:15], v8, s[2:3] offset:32 scope:SCOPE_SYS
	global_load_b64 v[0:1], v8, s[2:3] offset:40
	v_dual_mov_b32 v13, s5 :: v_dual_mov_b32 v12, s4
	s_wait_loadcnt 0x0
	v_and_b32_e32 v1, s5, v1
	v_and_b32_e32 v0, s4, v0
	s_delay_alu instid0(VALU_DEP_2) | instskip(NEXT) | instid1(VALU_DEP_2)
	v_mul_lo_u32 v1, 24, v1
	v_mul_lo_u32 v2, 0, v0
	v_mul_hi_u32 v3, 24, v0
	v_mul_lo_u32 v0, 24, v0
	s_delay_alu instid0(VALU_DEP_3) | instskip(NEXT) | instid1(VALU_DEP_2)
	v_add_nc_u32_e32 v1, v1, v2
	v_add_co_u32 v4, vcc_lo, v6, v0
	s_delay_alu instid0(VALU_DEP_2) | instskip(SKIP_1) | instid1(VALU_DEP_1)
	v_add_nc_u32_e32 v1, v1, v3
	s_wait_alu 0xfffd
	v_add_co_ci_u32_e64 v5, null, v7, v1, vcc_lo
	global_store_b64 v[4:5], v[14:15], off
	global_wb scope:SCOPE_SYS
	s_wait_storecnt 0x0
	global_atomic_cmpswap_b64 v[2:3], v8, v[12:15], s[2:3] offset:32 th:TH_ATOMIC_RETURN scope:SCOPE_SYS
	s_wait_loadcnt 0x0
	v_cmpx_ne_u64_e64 v[2:3], v[14:15]
	s_cbranch_execz .LBB3_437
; %bb.435:
	s_mov_b32 s7, 0
.LBB3_436:                              ; =>This Inner Loop Header: Depth=1
	v_dual_mov_b32 v0, s4 :: v_dual_mov_b32 v1, s5
	s_sleep 1
	global_store_b64 v[4:5], v[2:3], off
	global_wb scope:SCOPE_SYS
	s_wait_storecnt 0x0
	global_atomic_cmpswap_b64 v[0:1], v8, v[0:3], s[2:3] offset:32 th:TH_ATOMIC_RETURN scope:SCOPE_SYS
	s_wait_loadcnt 0x0
	v_cmp_eq_u64_e32 vcc_lo, v[0:1], v[2:3]
	v_dual_mov_b32 v3, v1 :: v_dual_mov_b32 v2, v0
	s_wait_alu 0xfffe
	s_or_b32 s7, vcc_lo, s7
	s_wait_alu 0xfffe
	s_and_not1_b32 exec_lo, exec_lo, s7
	s_cbranch_execnz .LBB3_436
.LBB3_437:
	s_wait_alu 0xfffe
	s_or_b32 exec_lo, exec_lo, s6
	v_mov_b32_e32 v3, 0
	s_mov_b32 s7, exec_lo
	s_mov_b32 s6, exec_lo
	s_wait_alu 0xfffe
	v_mbcnt_lo_u32_b32 v2, s7, 0
	global_load_b64 v[0:1], v3, s[2:3] offset:16
	v_cmpx_eq_u32_e32 0, v2
	s_cbranch_execz .LBB3_439
; %bb.438:
	s_bcnt1_i32_b32 s7, s7
	s_wait_alu 0xfffe
	v_mov_b32_e32 v2, s7
	global_wb scope:SCOPE_SYS
	s_wait_loadcnt 0x0
	s_wait_storecnt 0x0
	global_atomic_add_u64 v[0:1], v[2:3], off offset:8 scope:SCOPE_SYS
.LBB3_439:
	s_or_b32 exec_lo, exec_lo, s6
	s_wait_loadcnt 0x0
	global_load_b64 v[2:3], v[0:1], off offset:16
	s_wait_loadcnt 0x0
	v_cmp_eq_u64_e32 vcc_lo, 0, v[2:3]
	s_cbranch_vccnz .LBB3_441
; %bb.440:
	global_load_b32 v0, v[0:1], off offset:24
	v_mov_b32_e32 v1, 0
	s_wait_loadcnt 0x0
	v_readfirstlane_b32 s6, v0
	global_wb scope:SCOPE_SYS
	s_wait_storecnt 0x0
	global_store_b64 v[2:3], v[0:1], off scope:SCOPE_SYS
	s_and_b32 m0, s6, 0xffffff
	s_sendmsg sendmsg(MSG_INTERRUPT)
.LBB3_441:
	s_wait_alu 0xfffe
	s_or_b32 exec_lo, exec_lo, s1
	s_branch .LBB3_445
.LBB3_442:                              ;   in Loop: Header=BB3_445 Depth=1
	s_wait_alu 0xfffe
	s_or_b32 exec_lo, exec_lo, s1
	s_delay_alu instid0(VALU_DEP_1)
	v_readfirstlane_b32 s1, v0
	s_cmp_eq_u32 s1, 0
	s_cbranch_scc1 .LBB3_444
; %bb.443:                              ;   in Loop: Header=BB3_445 Depth=1
	s_sleep 1
	s_cbranch_execnz .LBB3_445
	s_branch .LBB3_447
.LBB3_444:
	s_branch .LBB3_447
.LBB3_445:                              ; =>This Inner Loop Header: Depth=1
	v_mov_b32_e32 v0, 1
	s_and_saveexec_b32 s1, s0
	s_cbranch_execz .LBB3_442
; %bb.446:                              ;   in Loop: Header=BB3_445 Depth=1
	global_load_b32 v0, v[10:11], off offset:20 scope:SCOPE_SYS
	s_wait_loadcnt 0x0
	global_inv scope:SCOPE_SYS
	v_and_b32_e32 v0, 1, v0
	s_branch .LBB3_442
.LBB3_447:
	s_and_saveexec_b32 s6, s0
	s_cbranch_execz .LBB3_451
; %bb.448:
	v_mov_b32_e32 v6, 0
	s_clause 0x2
	global_load_b64 v[0:1], v6, s[2:3] offset:40
	global_load_b64 v[9:10], v6, s[2:3] offset:24 scope:SCOPE_SYS
	global_load_b64 v[2:3], v6, s[2:3]
	s_wait_loadcnt 0x2
	v_readfirstlane_b32 s10, v0
	v_readfirstlane_b32 s11, v1
	s_add_nc_u64 s[0:1], s[10:11], 1
	s_wait_alu 0xfffe
	s_add_nc_u64 s[4:5], s[0:1], s[4:5]
	s_wait_alu 0xfffe
	s_cmp_eq_u64 s[4:5], 0
	s_cselect_b32 s1, s1, s5
	s_cselect_b32 s0, s0, s4
	s_wait_alu 0xfffe
	v_mov_b32_e32 v8, s1
	s_and_b64 s[4:5], s[0:1], s[10:11]
	v_mov_b32_e32 v7, s0
	s_wait_alu 0xfffe
	s_mul_u64 s[4:5], s[4:5], 24
	s_wait_loadcnt 0x0
	s_wait_alu 0xfffe
	v_add_co_u32 v4, vcc_lo, v2, s4
	s_wait_alu 0xfffd
	v_add_co_ci_u32_e64 v5, null, s5, v3, vcc_lo
	global_store_b64 v[4:5], v[9:10], off
	global_wb scope:SCOPE_SYS
	s_wait_storecnt 0x0
	global_atomic_cmpswap_b64 v[2:3], v6, v[7:10], s[2:3] offset:24 th:TH_ATOMIC_RETURN scope:SCOPE_SYS
	s_wait_loadcnt 0x0
	v_cmp_ne_u64_e32 vcc_lo, v[2:3], v[9:10]
	s_and_b32 exec_lo, exec_lo, vcc_lo
	s_cbranch_execz .LBB3_451
; %bb.449:
	s_mov_b32 s4, 0
.LBB3_450:                              ; =>This Inner Loop Header: Depth=1
	v_dual_mov_b32 v0, s0 :: v_dual_mov_b32 v1, s1
	s_sleep 1
	global_store_b64 v[4:5], v[2:3], off
	global_wb scope:SCOPE_SYS
	s_wait_storecnt 0x0
	global_atomic_cmpswap_b64 v[0:1], v6, v[0:3], s[2:3] offset:24 th:TH_ATOMIC_RETURN scope:SCOPE_SYS
	s_wait_loadcnt 0x0
	v_cmp_eq_u64_e32 vcc_lo, v[0:1], v[2:3]
	v_dual_mov_b32 v3, v1 :: v_dual_mov_b32 v2, v0
	s_wait_alu 0xfffe
	s_or_b32 s4, vcc_lo, s4
	s_wait_alu 0xfffe
	s_and_not1_b32 exec_lo, exec_lo, s4
	s_cbranch_execnz .LBB3_450
.LBB3_451:
	s_wait_alu 0xfffe
	s_or_b32 exec_lo, exec_lo, s6
.LBB3_452:
	s_getpc_b64 s[0:1]
	s_wait_alu 0xfffe
	s_sext_i32_i16 s1, s1
	s_add_co_u32 s0, s0, .str.29@rel32@lo+12
	s_wait_alu 0xfffe
	s_add_co_ci_u32 s1, s1, .str.29@rel32@hi+24
	s_getpc_b64 s[2:3]
	s_wait_alu 0xfffe
	s_sext_i32_i16 s3, s3
	s_add_co_u32 s2, s2, .str.19@rel32@lo+12
	s_wait_alu 0xfffe
	s_add_co_ci_u32 s3, s3, .str.19@rel32@hi+24
	s_getpc_b64 s[4:5]
	s_wait_alu 0xfffe
	s_sext_i32_i16 s5, s5
	s_add_co_u32 s4, s4, __PRETTY_FUNCTION__._ZN7VecsMemIjLi8192EE5fetchEi@rel32@lo+12
	s_wait_alu 0xfffe
	s_add_co_ci_u32 s5, s5, __PRETTY_FUNCTION__._ZN7VecsMemIjLi8192EE5fetchEi@rel32@hi+24
	v_dual_mov_b32 v0, s0 :: v_dual_mov_b32 v1, s1
	s_wait_loadcnt 0x0
	v_dual_mov_b32 v2, s2 :: v_dual_mov_b32 v3, s3
	v_dual_mov_b32 v4, 12 :: v_dual_mov_b32 v5, s4
	s_wait_alu 0xfffe
	v_mov_b32_e32 v6, s5
	s_getpc_b64 s[6:7]
	s_wait_alu 0xfffe
	s_sext_i32_i16 s7, s7
	s_add_co_u32 s6, s6, __assert_fail@rel32@lo+12
	s_wait_alu 0xfffe
	s_add_co_ci_u32 s7, s7, __assert_fail@rel32@hi+24
	s_wait_alu 0xfffe
	s_swappc_b64 s[30:31], s[6:7]
	v_dual_mov_b32 v0, v64 :: v_dual_mov_b32 v1, v54
	s_or_b32 s0, s70, exec_lo
.LBB3_453:
	s_or_b32 exec_lo, exec_lo, s20
	s_delay_alu instid0(SALU_CYCLE_1)
	s_and_not1_b32 s1, s70, exec_lo
	s_wait_alu 0xfffe
	s_and_b32 s0, s0, exec_lo
	s_wait_alu 0xfffe
	s_or_b32 s20, s1, s0
	s_or_not1_b32 s0, s19, exec_lo
.LBB3_454:
	s_wait_alu 0xfffe
	s_or_b32 exec_lo, exec_lo, s18
	s_and_saveexec_b32 s18, s0
	s_mov_b64 s[8:9], s[34:35]
	s_cbranch_execz .LBB3_487
; %bb.455:
	s_mov_b32 s19, 0
	s_mov_b32 s21, s20
	flat_store_b64 v[45:46], v[66:67] offset:8
	s_mov_b32 s0, exec_lo
	v_cmpx_ne_u64_e32 0, v[66:67]
	s_wait_alu 0xfffe
	s_xor_b32 s17, exec_lo, s0
	s_cbranch_execz .LBB3_484
; %bb.456:
	v_mov_b32_e32 v2, 0
	v_lshlrev_b32_e32 v6, 1, v63
	s_mov_b32 s1, exec_lo
	v_cmpx_lt_i32_e32 0, v68
	s_cbranch_execz .LBB3_460
; %bb.457:
	scratch_load_b64 v[2:3], off, s33 offset:104
	v_lshlrev_b32_e64 v7, v6, 1
	v_dual_mov_b32 v4, v66 :: v_dual_mov_b32 v5, v67
	v_mov_b32_e32 v8, v68
	s_mov_b32 s2, 0
.LBB3_458:                              ; =>This Inner Loop Header: Depth=1
	s_wait_loadcnt 0x0
	flat_load_b32 v9, v[2:3]
	v_add_nc_u32_e32 v8, -1, v8
	v_add_co_u32 v2, vcc_lo, v2, 4
	s_wait_alu 0xfffd
	v_add_co_ci_u32_e64 v3, null, 0, v3, vcc_lo
	s_delay_alu instid0(VALU_DEP_3)
	v_cmp_eq_u32_e32 vcc_lo, 0, v8
	s_wait_alu 0xfffe
	s_or_b32 s2, vcc_lo, s2
	s_wait_loadcnt_dscnt 0x0
	v_or_b32_e32 v9, v9, v7
	flat_store_b32 v[4:5], v9
	v_add_co_u32 v4, s0, v4, 4
	s_wait_alu 0xf1ff
	v_add_co_ci_u32_e64 v5, null, 0, v5, s0
	s_wait_alu 0xfffe
	s_and_not1_b32 exec_lo, exec_lo, s2
	s_cbranch_execnz .LBB3_458
; %bb.459:
	s_or_b32 exec_lo, exec_lo, s2
	v_mov_b32_e32 v2, v68
.LBB3_460:
	s_wait_alu 0xfffe
	s_or_b32 exec_lo, exec_lo, s1
	s_mov_b32 s2, 0
	s_mov_b32 s1, exec_lo
	v_cmpx_lt_i32_e32 0, v65
	s_cbranch_execz .LBB3_464
; %bb.461:
	scratch_load_b64 v[4:5], off, s33 offset:120
	v_mov_b32_e32 v3, 0
	s_delay_alu instid0(VALU_DEP_1) | instskip(SKIP_2) | instid1(VALU_DEP_3)
	v_lshlrev_b64_e32 v[7:8], 2, v[2:3]
	v_lshlrev_b32_e64 v3, v6, 2
	v_add_nc_u32_e32 v2, v65, v2
	v_add_co_u32 v6, vcc_lo, v66, v7
	s_wait_alu 0xfffd
	s_delay_alu instid0(VALU_DEP_4)
	v_add_co_ci_u32_e64 v7, null, v67, v8, vcc_lo
.LBB3_462:                              ; =>This Inner Loop Header: Depth=1
	s_wait_loadcnt 0x0
	flat_load_b32 v8, v[4:5]
	v_add_nc_u32_e32 v65, -1, v65
	v_add_co_u32 v4, vcc_lo, v4, 4
	s_wait_alu 0xfffd
	v_add_co_ci_u32_e64 v5, null, 0, v5, vcc_lo
	s_delay_alu instid0(VALU_DEP_3)
	v_cmp_eq_u32_e32 vcc_lo, 0, v65
	s_wait_alu 0xfffe
	s_or_b32 s2, vcc_lo, s2
	s_wait_loadcnt_dscnt 0x0
	v_or_b32_e32 v8, v8, v3
	flat_store_b32 v[6:7], v8
	v_add_co_u32 v6, s0, v6, 4
	s_wait_alu 0xf1ff
	v_add_co_ci_u32_e64 v7, null, 0, v7, s0
	s_wait_alu 0xfffe
	s_and_not1_b32 exec_lo, exec_lo, s2
	s_cbranch_execnz .LBB3_462
; %bb.463:
	s_or_b32 exec_lo, exec_lo, s2
.LBB3_464:
	s_wait_alu 0xfffe
	s_or_b32 exec_lo, exec_lo, s1
	s_mov_b32 s2, 0
	s_mov_b32 s1, exec_lo
	v_cmpx_lt_i32_e32 0, v55
	s_cbranch_execz .LBB3_468
; %bb.465:
	scratch_load_b64 v[4:5], off, s33 offset:136
	v_mov_b32_e32 v3, 0
	s_delay_alu instid0(VALU_DEP_1) | instskip(SKIP_1) | instid1(VALU_DEP_2)
	v_lshlrev_b64_e32 v[6:7], 2, v[2:3]
	v_add_nc_u32_e32 v2, v2, v55
	v_add_co_u32 v6, vcc_lo, v66, v6
	s_wait_alu 0xfffd
	s_delay_alu instid0(VALU_DEP_3)
	v_add_co_ci_u32_e64 v7, null, v67, v7, vcc_lo
.LBB3_466:                              ; =>This Inner Loop Header: Depth=1
	s_wait_loadcnt 0x0
	flat_load_b32 v3, v[4:5]
	v_add_nc_u32_e32 v55, -1, v55
	v_add_co_u32 v4, vcc_lo, v4, 4
	s_wait_alu 0xfffd
	v_add_co_ci_u32_e64 v5, null, 0, v5, vcc_lo
	s_delay_alu instid0(VALU_DEP_3)
	v_cmp_eq_u32_e32 vcc_lo, 0, v55
	s_wait_alu 0xfffe
	s_or_b32 s2, vcc_lo, s2
	s_wait_loadcnt_dscnt 0x0
	flat_store_b32 v[6:7], v3
	v_add_co_u32 v6, s0, v6, 4
	s_wait_alu 0xf1ff
	v_add_co_ci_u32_e64 v7, null, 0, v7, s0
	s_wait_alu 0xfffe
	s_and_not1_b32 exec_lo, exec_lo, s2
	s_cbranch_execnz .LBB3_466
; %bb.467:
	s_or_b32 exec_lo, exec_lo, s2
.LBB3_468:
	s_wait_alu 0xfffe
	s_or_b32 exec_lo, exec_lo, s1
	flat_load_b32 v3, v[45:46] offset:4
	s_mov_b32 s2, s20
	s_mov_b32 s0, exec_lo
	s_wait_loadcnt_dscnt 0x0
	v_cmpx_ne_u32_e64 v2, v3
	s_wait_alu 0xfffe
	s_xor_b32 s19, exec_lo, s0
	s_cbranch_execz .LBB3_470
; %bb.469:
	s_getpc_b64 s[0:1]
	s_wait_alu 0xfffe
	s_sext_i32_i16 s1, s1
	s_add_co_u32 s0, s0, .str.23@rel32@lo+12
	s_wait_alu 0xfffe
	s_add_co_ci_u32 s1, s1, .str.23@rel32@hi+24
	s_getpc_b64 s[2:3]
	s_wait_alu 0xfffe
	s_sext_i32_i16 s3, s3
	s_add_co_u32 s2, s2, .str.16@rel32@lo+12
	s_wait_alu 0xfffe
	s_add_co_ci_u32 s3, s3, .str.16@rel32@hi+24
	s_getpc_b64 s[4:5]
	s_wait_alu 0xfffe
	s_sext_i32_i16 s5, s5
	s_add_co_u32 s4, s4, __PRETTY_FUNCTION__._ZN3sop13minatoIsopRecEPKjS1_iPNS_3SopEP7VecsMemIjLi8192EE@rel32@lo+12
	s_wait_alu 0xfffe
	s_add_co_ci_u32 s5, s5, __PRETTY_FUNCTION__._ZN3sop13minatoIsopRecEPKjS1_iPNS_3SopEP7VecsMemIjLi8192EE@rel32@hi+24
	v_dual_mov_b32 v0, s0 :: v_dual_mov_b32 v1, s1
	v_dual_mov_b32 v2, s2 :: v_dual_mov_b32 v3, s3
	;; [unrolled: 1-line block ×3, first 2 shown]
	s_wait_alu 0xfffe
	v_mov_b32_e32 v6, s5
	s_getpc_b64 s[6:7]
	s_wait_alu 0xfffe
	s_sext_i32_i16 s7, s7
	s_add_co_u32 s6, s6, __assert_fail@rel32@lo+12
	s_wait_alu 0xfffe
	s_add_co_ci_u32 s7, s7, __assert_fail@rel32@hi+24
	s_mov_b64 s[8:9], s[34:35]
	s_wait_alu 0xfffe
	s_swappc_b64 s[30:31], s[6:7]
	s_mov_b64 s[8:9], s[34:35]
	s_or_b32 s2, s20, exec_lo
                                        ; implicit-def: $vgpr78
                                        ; implicit-def: $vgpr76_vgpr77
                                        ; implicit-def: $vgpr47
                                        ; implicit-def: $vgpr60
                                        ; implicit-def: $vgpr61
                                        ; implicit-def: $vgpr62
                                        ; implicit-def: $vgpr0
                                        ; implicit-def: $vgpr1
                                        ; implicit-def: $vgpr74_vgpr75
.LBB3_470:
	s_wait_alu 0xfffe
	s_or_saveexec_b32 s3, s19
	s_mov_b32 s0, 0
	s_wait_alu 0xfffe
	s_xor_b32 exec_lo, exec_lo, s3
	s_cbranch_execz .LBB3_483
; %bb.471:
	s_and_saveexec_b32 s1, s36
	s_cbranch_execz .LBB3_476
; %bb.472:
	v_dual_mov_b32 v3, 0 :: v_dual_add_nc_u32 v2, -1, v76
	s_mov_b32 s4, 0
	s_delay_alu instid0(VALU_DEP_1) | instskip(NEXT) | instid1(VALU_DEP_1)
	v_lshlrev_b64_e32 v[2:3], 2, v[2:3]
	v_add_co_u32 v4, vcc_lo, v41, v2
	s_wait_alu 0xfffd
	s_delay_alu instid0(VALU_DEP_2)
	v_add_co_ci_u32_e64 v5, null, v42, v3, vcc_lo
	v_add_co_u32 v0, vcc_lo, v0, v2
	s_wait_alu 0xfffd
	v_add_co_ci_u32_e64 v1, null, v1, v3, vcc_lo
	v_add_nc_u32_e32 v10, 1, v76
	v_add_co_u32 v6, vcc_lo, v47, v2
	s_delay_alu instid0(VALU_DEP_3)
	v_mov_b32_e32 v9, v1
	s_wait_alu 0xfffd
	v_add_co_ci_u32_e64 v7, null, v60, v3, vcc_lo
	v_dual_mov_b32 v8, v0 :: v_dual_mov_b32 v11, v10
.LBB3_473:                              ; =>This Inner Loop Header: Depth=1
	flat_load_b32 v12, v[6:7]
	flat_load_b32 v13, v[8:9]
	v_add_nc_u32_e32 v11, -1, v11
	v_add_co_u32 v8, vcc_lo, v8, -4
	s_wait_alu 0xfffd
	v_add_co_ci_u32_e64 v9, null, -1, v9, vcc_lo
	v_add_co_u32 v6, vcc_lo, v6, -4
	s_wait_alu 0xfffd
	v_add_co_ci_u32_e64 v7, null, -1, v7, vcc_lo
	v_cmp_gt_u32_e32 vcc_lo, 2, v11
	s_wait_alu 0xfffe
	s_or_b32 s4, vcc_lo, s4
	s_wait_loadcnt_dscnt 0x0
	v_or_b32_e32 v12, v13, v12
	flat_store_b32 v[4:5], v12
	v_add_co_u32 v4, s0, v4, -4
	s_wait_alu 0xf1ff
	v_add_co_ci_u32_e64 v5, null, -1, v5, s0
	s_wait_alu 0xfffe
	s_and_not1_b32 exec_lo, exec_lo, s4
	s_cbranch_execnz .LBB3_473
; %bb.474:
	s_or_b32 exec_lo, exec_lo, s4
	v_add_co_u32 v4, vcc_lo, v74, v2
	s_wait_alu 0xfffd
	v_add_co_ci_u32_e64 v5, null, v75, v3, vcc_lo
	s_mov_b32 s4, 0
	v_add_co_u32 v4, vcc_lo, v41, v4
	s_wait_alu 0xfffd
	v_add_co_ci_u32_e64 v5, null, v42, v5, vcc_lo
	v_add_co_u32 v2, vcc_lo, v61, v2
	s_wait_alu 0xfffd
	v_add_co_ci_u32_e64 v3, null, v62, v3, vcc_lo
.LBB3_475:                              ; =>This Inner Loop Header: Depth=1
	flat_load_b32 v6, v[2:3]
	flat_load_b32 v7, v[0:1]
	v_add_nc_u32_e32 v10, -1, v10
	v_add_co_u32 v0, vcc_lo, v0, -4
	s_wait_alu 0xfffd
	v_add_co_ci_u32_e64 v1, null, -1, v1, vcc_lo
	v_add_co_u32 v2, vcc_lo, v2, -4
	s_wait_alu 0xfffd
	v_add_co_ci_u32_e64 v3, null, -1, v3, vcc_lo
	v_cmp_gt_u32_e32 vcc_lo, 2, v10
	s_wait_alu 0xfffe
	s_or_b32 s4, vcc_lo, s4
	s_wait_loadcnt_dscnt 0x0
	v_or_b32_e32 v6, v7, v6
	flat_store_b32 v[4:5], v6
	v_add_co_u32 v4, s0, v4, -4
	s_wait_alu 0xf1ff
	v_add_co_ci_u32_e64 v5, null, -1, v5, s0
	s_wait_alu 0xfffe
	s_and_not1_b32 exec_lo, exec_lo, s4
	s_cbranch_execnz .LBB3_475
.LBB3_476:
	s_wait_alu 0xfffe
	s_or_b32 exec_lo, exec_lo, s1
	v_lshlrev_b32_e64 v6, v78, 2
	v_ashrrev_i32_e32 v4, 31, v73
	s_mov_b32 s4, 0
	s_mov_b32 s6, 1
	s_mov_b32 s5, exec_lo
	v_ashrrev_i32_e32 v0, 31, v6
	v_add_nc_u32_e32 v5, v73, v4
	s_delay_alu instid0(VALU_DEP_2) | instskip(NEXT) | instid1(VALU_DEP_2)
	v_add_nc_u32_e32 v1, v6, v0
	v_xor_b32_e32 v5, v5, v4
	s_delay_alu instid0(VALU_DEP_2) | instskip(SKIP_1) | instid1(VALU_DEP_2)
	v_xor_b32_e32 v1, v1, v0
	v_xor_b32_e32 v0, v4, v0
	v_cvt_f32_u32_e32 v2, v1
	v_sub_nc_u32_e32 v3, 0, v1
	s_delay_alu instid0(VALU_DEP_2) | instskip(NEXT) | instid1(TRANS32_DEP_1)
	v_rcp_iflag_f32_e32 v2, v2
	v_mul_f32_e32 v2, 0x4f7ffffe, v2
	s_delay_alu instid0(VALU_DEP_1) | instskip(NEXT) | instid1(VALU_DEP_1)
	v_cvt_u32_f32_e32 v2, v2
	v_mul_lo_u32 v3, v3, v2
	s_delay_alu instid0(VALU_DEP_1) | instskip(NEXT) | instid1(VALU_DEP_1)
	v_mul_hi_u32 v3, v2, v3
	v_add_nc_u32_e32 v2, v2, v3
	s_delay_alu instid0(VALU_DEP_1) | instskip(NEXT) | instid1(VALU_DEP_1)
	v_mul_hi_u32 v2, v5, v2
	v_mul_lo_u32 v3, v2, v1
	s_delay_alu instid0(VALU_DEP_1) | instskip(SKIP_1) | instid1(VALU_DEP_2)
	v_sub_nc_u32_e32 v3, v5, v3
	v_add_nc_u32_e32 v5, 1, v2
	v_sub_nc_u32_e32 v7, v3, v1
	v_cmp_ge_u32_e32 vcc_lo, v3, v1
	s_wait_alu 0xfffd
	s_delay_alu instid0(VALU_DEP_2) | instskip(NEXT) | instid1(VALU_DEP_1)
	v_dual_cndmask_b32 v3, v3, v7 :: v_dual_cndmask_b32 v2, v2, v5
	v_cmp_ge_u32_e32 vcc_lo, v3, v1
	s_delay_alu instid0(VALU_DEP_2) | instskip(SKIP_1) | instid1(VALU_DEP_1)
	v_add_nc_u32_e32 v5, 1, v2
	s_wait_alu 0xfffd
	v_cndmask_b32_e32 v1, v2, v5, vcc_lo
	s_delay_alu instid0(VALU_DEP_1) | instskip(NEXT) | instid1(VALU_DEP_1)
	v_xor_b32_e32 v1, v1, v0
	v_sub_nc_u32_e32 v7, v1, v0
	s_delay_alu instid0(VALU_DEP_1)
	v_cmpx_lt_i32_e32 1, v7
	s_cbranch_execz .LBB3_482
; %bb.477:
	v_dual_mov_b32 v1, 0 :: v_dual_mov_b32 v0, v6
	v_cmp_lt_i32_e32 vcc_lo, 0, v6
	s_branch .LBB3_479
.LBB3_478:                              ;   in Loop: Header=BB3_479 Depth=1
	s_wait_alu 0xfffe
	s_or_b32 exec_lo, exec_lo, s7
	s_add_co_i32 s6, s6, 1
	v_add_nc_u32_e32 v0, v0, v6
	s_wait_alu 0xfffe
	v_cmp_eq_u32_e64 s0, s6, v7
	s_or_b32 s4, s0, s4
	s_wait_alu 0xfffe
	s_and_not1_b32 exec_lo, exec_lo, s4
	s_cbranch_execz .LBB3_482
.LBB3_479:                              ; =>This Loop Header: Depth=1
                                        ;     Child Loop BB3_481 Depth 2
	s_and_saveexec_b32 s7, vcc_lo
	s_cbranch_execz .LBB3_478
; %bb.480:                              ;   in Loop: Header=BB3_479 Depth=1
	v_lshlrev_b64_e32 v[2:3], 2, v[0:1]
	v_dual_mov_b32 v4, v41 :: v_dual_mov_b32 v5, v42
	v_mov_b32_e32 v8, v6
	s_mov_b32 s10, 0
.LBB3_481:                              ;   Parent Loop BB3_479 Depth=1
                                        ; =>  This Inner Loop Header: Depth=2
	flat_load_b32 v11, v[4:5]
	v_add_nc_u32_e32 v8, -1, v8
	v_add_co_u32 v9, s0, v4, v2
	s_wait_alu 0xf1ff
	v_add_co_ci_u32_e64 v10, null, v5, v3, s0
	s_delay_alu instid0(VALU_DEP_3)
	v_cmp_eq_u32_e64 s0, 0, v8
	v_add_co_u32 v4, s1, v4, 4
	s_wait_alu 0xf1ff
	v_add_co_ci_u32_e64 v5, null, 0, v5, s1
	s_wait_alu 0xfffe
	s_or_b32 s10, s0, s10
	s_wait_loadcnt_dscnt 0x0
	flat_store_b32 v[9:10], v11
	s_wait_alu 0xfffe
	s_and_not1_b32 exec_lo, exec_lo, s10
	s_cbranch_execnz .LBB3_481
	s_branch .LBB3_478
.LBB3_482:
	s_wait_alu 0xfffe
	s_or_b32 exec_lo, exec_lo, s5
	s_delay_alu instid0(SALU_CYCLE_1)
	s_mov_b32 s0, exec_lo
.LBB3_483:
	s_or_b32 exec_lo, exec_lo, s3
	s_delay_alu instid0(SALU_CYCLE_1)
	s_and_not1_b32 s1, s20, exec_lo
	s_and_b32 s2, s2, exec_lo
	s_wait_alu 0xfffe
	s_and_b32 s19, s0, exec_lo
	s_or_b32 s21, s1, s2
.LBB3_484:
	s_wait_alu 0xfffe
	s_and_not1_saveexec_b32 s17, s17
	s_cbranch_execz .LBB3_486
; %bb.485:
	s_getpc_b64 s[0:1]
	s_wait_alu 0xfffe
	s_sext_i32_i16 s1, s1
	s_add_co_u32 s0, s0, .str.20@rel32@lo+12
	s_wait_alu 0xfffe
	s_add_co_ci_u32 s1, s1, .str.20@rel32@hi+24
	s_getpc_b64 s[2:3]
	s_wait_alu 0xfffe
	s_sext_i32_i16 s3, s3
	s_add_co_u32 s2, s2, .str.16@rel32@lo+12
	s_wait_alu 0xfffe
	s_add_co_ci_u32 s3, s3, .str.16@rel32@hi+24
	s_getpc_b64 s[4:5]
	s_wait_alu 0xfffe
	s_sext_i32_i16 s5, s5
	s_add_co_u32 s4, s4, __PRETTY_FUNCTION__._ZN3sop13minatoIsopRecEPKjS1_iPNS_3SopEP7VecsMemIjLi8192EE@rel32@lo+12
	s_wait_alu 0xfffe
	s_add_co_ci_u32 s5, s5, __PRETTY_FUNCTION__._ZN3sop13minatoIsopRecEPKjS1_iPNS_3SopEP7VecsMemIjLi8192EE@rel32@hi+24
	v_dual_mov_b32 v0, s0 :: v_dual_mov_b32 v1, s1
	v_dual_mov_b32 v2, s2 :: v_dual_mov_b32 v3, s3
	;; [unrolled: 1-line block ×3, first 2 shown]
	s_wait_alu 0xfffe
	v_mov_b32_e32 v6, s5
	s_getpc_b64 s[6:7]
	s_wait_alu 0xfffe
	s_sext_i32_i16 s7, s7
	s_add_co_u32 s6, s6, __assert_fail@rel32@lo+12
	s_wait_alu 0xfffe
	s_add_co_ci_u32 s7, s7, __assert_fail@rel32@hi+24
	s_mov_b64 s[8:9], s[34:35]
	s_wait_alu 0xfffe
	s_swappc_b64 s[30:31], s[6:7]
	s_mov_b64 s[8:9], s[34:35]
	s_or_b32 s21, s21, exec_lo
.LBB3_486:
	s_wait_alu 0xfffe
	s_or_b32 exec_lo, exec_lo, s17
	s_delay_alu instid0(SALU_CYCLE_1)
	s_and_not1_b32 s0, s20, exec_lo
	s_and_b32 s1, s21, exec_lo
	s_and_b32 s17, s19, exec_lo
	s_wait_alu 0xfffe
	s_or_b32 s20, s0, s1
.LBB3_487:
	s_wait_alu 0xfffe
	s_or_b32 exec_lo, exec_lo, s18
	s_delay_alu instid0(SALU_CYCLE_1)
	s_and_not1_b32 s0, s70, exec_lo
	s_and_b32 s1, s20, exec_lo
	s_and_b32 s80, s17, exec_lo
	s_wait_alu 0xfffe
	s_or_b32 s81, s0, s1
                                        ; implicit-def: $vgpr58_vgpr59
                                        ; implicit-def: $vgpr56_vgpr57
                                        ; implicit-def: $vgpr45
                                        ; implicit-def: $vgpr54
.LBB3_488:
	s_wait_alu 0xfffe
	s_and_not1_saveexec_b32 s82, s37
	s_cbranch_execz .LBB3_493
; %bb.489:
	flat_load_b32 v0, v[58:59]
	flat_load_b32 v1, v[56:57]
	v_dual_mov_b32 v2, v54 :: v_dual_mov_b32 v3, v45
	v_dual_mov_b32 v4, v46 :: v_dual_mov_b32 v5, v43
	v_mov_b32_e32 v6, v44
	s_getpc_b64 s[0:1]
	s_wait_alu 0xfffe
	s_sext_i32_i16 s1, s1
	s_add_co_u32 s0, s0, _ZN3sop14minatoIsop5RecEjjiPNS_3SopEP7VecsMemIjLi8192EE@rel32@lo+12
	s_wait_alu 0xfffe
	s_add_co_ci_u32 s1, s1, _ZN3sop14minatoIsop5RecEjjiPNS_3SopEP7VecsMemIjLi8192EE@rel32@hi+24
	s_mov_b64 s[54:55], s[8:9]
	s_wait_alu 0xfffe
	s_swappc_b64 s[30:31], s[0:1]
	s_and_saveexec_b32 s1, s69
	s_cbranch_execz .LBB3_492
; %bb.490:
	v_dual_mov_b32 v1, v41 :: v_dual_mov_b32 v2, v42
	s_mov_b32 s2, 0
.LBB3_491:                              ; =>This Inner Loop Header: Depth=1
	v_add_nc_u32_e32 v73, -1, v73
	flat_store_b32 v[1:2], v0
	v_add_co_u32 v1, s0, v1, 4
	s_wait_alu 0xf1ff
	v_add_co_ci_u32_e64 v2, null, 0, v2, s0
	v_cmp_eq_u32_e32 vcc_lo, 0, v73
	s_wait_alu 0xfffe
	s_or_b32 s2, vcc_lo, s2
	s_wait_alu 0xfffe
	s_and_not1_b32 exec_lo, exec_lo, s2
	s_cbranch_execnz .LBB3_491
.LBB3_492:
	s_wait_alu 0xfffe
	s_or_b32 exec_lo, exec_lo, s1
	s_delay_alu instid0(SALU_CYCLE_1)
	s_or_b32 s80, s80, exec_lo
	s_mov_b64 s[8:9], s[54:55]
.LBB3_493:
	s_wait_alu 0xfffe
	s_or_b32 exec_lo, exec_lo, s82
	s_delay_alu instid0(SALU_CYCLE_1)
	s_and_not1_b32 s0, s70, exec_lo
	s_and_b32 s1, s81, exec_lo
	s_wait_alu 0xfffe
	s_or_b32 s70, s0, s1
	s_and_b32 s0, s80, exec_lo
.LBB3_494:
	s_wait_alu 0xfffe
	s_or_b32 exec_lo, exec_lo, s71
	s_delay_alu instid0(SALU_CYCLE_1)
	s_and_not1_b32 s1, s64, exec_lo
	s_and_b32 s2, s70, exec_lo
	s_and_b32 s17, s0, exec_lo
	s_wait_alu 0xfffe
	s_or_b32 s20, s1, s2
                                        ; implicit-def: $vgpr45_vgpr46
                                        ; implicit-def: $vgpr43_vgpr44
                                        ; implicit-def: $vgpr73
.LBB3_495:
	s_wait_alu 0xfffe
	s_and_not1_saveexec_b32 s21, s68
	s_cbranch_execz .LBB3_638
; %bb.496:
	v_dual_mov_b32 v0, 0 :: v_dual_mov_b32 v1, 1
	s_mov_b32 s22, s17
	s_mov_b32 s0, exec_lo
	flat_store_b64 v[45:46], v[0:1]
	flat_load_b32 v1, v[43:44]
	s_wait_loadcnt_dscnt 0x0
	v_cmpx_gt_i32_e32 0x2000, v1
	s_wait_alu 0xfffe
	s_xor_b32 s1, exec_lo, s0
	s_cbranch_execz .LBB3_501
; %bb.497:
	v_ashrrev_i32_e32 v2, 31, v1
	s_mov_b32 s2, exec_lo
	s_delay_alu instid0(VALU_DEP_1) | instskip(SKIP_1) | instid1(VALU_DEP_2)
	v_lshlrev_b64_e32 v[2:3], 2, v[1:2]
	v_add_nc_u32_e32 v1, 1, v1
	v_add_co_u32 v2, vcc_lo, v43, v2
	s_wait_alu 0xfffd
	s_delay_alu instid0(VALU_DEP_3) | instskip(NEXT) | instid1(VALU_DEP_2)
	v_add_co_ci_u32_e64 v3, null, v44, v3, vcc_lo
	v_add_co_u32 v4, vcc_lo, v2, 4
	s_wait_alu 0xfffd
	s_delay_alu instid0(VALU_DEP_2)
	v_add_co_ci_u32_e64 v5, null, 0, v3, vcc_lo
	flat_store_b32 v[43:44], v1
	flat_store_b64 v[45:46], v[4:5] offset:8
	flat_store_b32 v[2:3], v0 offset:4
	v_cmpx_lt_i32_e32 0, v73
	s_cbranch_execz .LBB3_500
; %bb.498:
	v_dual_mov_b32 v2, v0 :: v_dual_add_nc_u32 v1, -1, v73
	s_mov_b32 s3, 0
	v_mov_b32_e32 v3, -1
	s_delay_alu instid0(VALU_DEP_2) | instskip(SKIP_1) | instid1(VALU_DEP_2)
	v_lshlrev_b64_e32 v[0:1], 2, v[1:2]
	v_add_nc_u32_e32 v2, 1, v73
	v_add_co_u32 v0, vcc_lo, v41, v0
	s_wait_alu 0xfffd
	s_delay_alu instid0(VALU_DEP_3)
	v_add_co_ci_u32_e64 v1, null, v42, v1, vcc_lo
.LBB3_499:                              ; =>This Inner Loop Header: Depth=1
	s_delay_alu instid0(VALU_DEP_3)
	v_add_nc_u32_e32 v2, -1, v2
	flat_store_b32 v[0:1], v3
	v_add_co_u32 v0, s0, v0, -4
	s_wait_alu 0xf1ff
	v_add_co_ci_u32_e64 v1, null, -1, v1, s0
	v_cmp_gt_u32_e32 vcc_lo, 2, v2
	s_wait_alu 0xfffe
	s_or_b32 s3, vcc_lo, s3
	s_wait_alu 0xfffe
	s_and_not1_b32 exec_lo, exec_lo, s3
	s_cbranch_execnz .LBB3_499
.LBB3_500:
	s_wait_alu 0xfffe
	s_or_b32 exec_lo, exec_lo, s2
	s_delay_alu instid0(SALU_CYCLE_1)
	s_or_b32 s22, s17, exec_lo
.LBB3_501:
	s_wait_alu 0xfffe
	s_or_saveexec_b32 s23, s1
	s_mov_b32 s0, s20
	s_wait_alu 0xfffe
	s_xor_b32 exec_lo, exec_lo, s23
	s_cbranch_execz .LBB3_637
; %bb.502:
	s_load_b64 s[2:3], s[8:9], 0x50
	v_mbcnt_lo_u32_b32 v31, -1, 0
	v_mov_b32_e32 v6, 0
	v_mov_b32_e32 v7, 0
	s_delay_alu instid0(VALU_DEP_3) | instskip(SKIP_1) | instid1(VALU_DEP_1)
	v_readfirstlane_b32 s0, v31
	s_wait_alu 0xf1ff
	v_cmp_eq_u32_e64 s0, s0, v31
	s_and_saveexec_b32 s1, s0
	s_cbranch_execz .LBB3_508
; %bb.503:
	v_mov_b32_e32 v0, 0
	s_mov_b32 s4, exec_lo
	s_wait_kmcnt 0x0
	global_load_b64 v[3:4], v0, s[2:3] offset:24 scope:SCOPE_SYS
	s_wait_loadcnt 0x0
	global_inv scope:SCOPE_SYS
	s_clause 0x1
	global_load_b64 v[1:2], v0, s[2:3] offset:40
	global_load_b64 v[5:6], v0, s[2:3]
	s_wait_loadcnt 0x1
	v_and_b32_e32 v2, v2, v4
	v_and_b32_e32 v1, v1, v3
	s_delay_alu instid0(VALU_DEP_2) | instskip(NEXT) | instid1(VALU_DEP_2)
	v_mul_lo_u32 v2, 24, v2
	v_mul_lo_u32 v7, 0, v1
	v_mul_hi_u32 v8, 24, v1
	v_mul_lo_u32 v1, 24, v1
	s_delay_alu instid0(VALU_DEP_3) | instskip(SKIP_1) | instid1(VALU_DEP_2)
	v_add_nc_u32_e32 v2, v2, v7
	s_wait_loadcnt 0x0
	v_add_co_u32 v1, vcc_lo, v5, v1
	s_delay_alu instid0(VALU_DEP_2) | instskip(SKIP_1) | instid1(VALU_DEP_1)
	v_add_nc_u32_e32 v2, v2, v8
	s_wait_alu 0xfffd
	v_add_co_ci_u32_e64 v2, null, v6, v2, vcc_lo
	global_load_b64 v[1:2], v[1:2], off scope:SCOPE_SYS
	s_wait_loadcnt 0x0
	global_atomic_cmpswap_b64 v[6:7], v0, v[1:4], s[2:3] offset:24 th:TH_ATOMIC_RETURN scope:SCOPE_SYS
	s_wait_loadcnt 0x0
	global_inv scope:SCOPE_SYS
	v_cmpx_ne_u64_e64 v[6:7], v[3:4]
	s_cbranch_execz .LBB3_507
; %bb.504:
	s_mov_b32 s5, 0
.LBB3_505:                              ; =>This Inner Loop Header: Depth=1
	s_sleep 1
	s_clause 0x1
	global_load_b64 v[1:2], v0, s[2:3] offset:40
	global_load_b64 v[8:9], v0, s[2:3]
	v_dual_mov_b32 v3, v6 :: v_dual_mov_b32 v4, v7
	s_wait_loadcnt 0x1
	s_delay_alu instid0(VALU_DEP_1) | instskip(NEXT) | instid1(VALU_DEP_2)
	v_and_b32_e32 v1, v1, v3
	v_and_b32_e32 v2, v2, v4
	s_wait_loadcnt 0x0
	s_delay_alu instid0(VALU_DEP_2) | instskip(NEXT) | instid1(VALU_DEP_1)
	v_mad_co_u64_u32 v[5:6], null, v1, 24, v[8:9]
	v_mov_b32_e32 v1, v6
	s_delay_alu instid0(VALU_DEP_1) | instskip(NEXT) | instid1(VALU_DEP_1)
	v_mad_co_u64_u32 v[1:2], null, v2, 24, v[1:2]
	v_mov_b32_e32 v6, v1
	global_load_b64 v[1:2], v[5:6], off scope:SCOPE_SYS
	s_wait_loadcnt 0x0
	global_atomic_cmpswap_b64 v[6:7], v0, v[1:4], s[2:3] offset:24 th:TH_ATOMIC_RETURN scope:SCOPE_SYS
	s_wait_loadcnt 0x0
	global_inv scope:SCOPE_SYS
	v_cmp_eq_u64_e32 vcc_lo, v[6:7], v[3:4]
	s_wait_alu 0xfffe
	s_or_b32 s5, vcc_lo, s5
	s_wait_alu 0xfffe
	s_and_not1_b32 exec_lo, exec_lo, s5
	s_cbranch_execnz .LBB3_505
; %bb.506:
	s_or_b32 exec_lo, exec_lo, s5
.LBB3_507:
	s_wait_alu 0xfffe
	s_or_b32 exec_lo, exec_lo, s4
.LBB3_508:
	s_wait_alu 0xfffe
	s_or_b32 exec_lo, exec_lo, s1
	v_readfirstlane_b32 s4, v6
	v_mov_b32_e32 v5, 0
	v_readfirstlane_b32 s5, v7
	s_mov_b32 s1, exec_lo
	s_wait_kmcnt 0x0
	s_clause 0x1
	global_load_b64 v[8:9], v5, s[2:3] offset:40
	global_load_b128 v[0:3], v5, s[2:3]
	s_wait_loadcnt 0x1
	s_wait_alu 0xf1ff
	v_and_b32_e32 v11, s5, v9
	v_and_b32_e32 v10, s4, v8
	s_delay_alu instid0(VALU_DEP_2) | instskip(NEXT) | instid1(VALU_DEP_2)
	v_mul_lo_u32 v4, 24, v11
	v_mul_lo_u32 v6, 0, v10
	v_mul_hi_u32 v7, 24, v10
	v_mul_lo_u32 v8, 24, v10
	s_delay_alu instid0(VALU_DEP_3) | instskip(SKIP_1) | instid1(VALU_DEP_2)
	v_add_nc_u32_e32 v4, v4, v6
	s_wait_loadcnt 0x0
	v_add_co_u32 v8, vcc_lo, v0, v8
	s_delay_alu instid0(VALU_DEP_2) | instskip(SKIP_1) | instid1(VALU_DEP_1)
	v_add_nc_u32_e32 v4, v4, v7
	s_wait_alu 0xfffd
	v_add_co_ci_u32_e64 v9, null, v1, v4, vcc_lo
	s_and_saveexec_b32 s6, s0
	s_cbranch_execz .LBB3_510
; %bb.509:
	s_wait_alu 0xfffe
	v_dual_mov_b32 v4, s1 :: v_dual_mov_b32 v7, 1
	v_mov_b32_e32 v6, 2
	global_store_b128 v[8:9], v[4:7], off offset:8
.LBB3_510:
	s_wait_alu 0xfffe
	s_or_b32 exec_lo, exec_lo, s6
	v_lshlrev_b64_e32 v[10:11], 12, v[10:11]
	v_dual_mov_b32 v7, v5 :: v_dual_lshlrev_b32 v30, 6, v31
	s_mov_b32 s12, 0
	s_wait_alu 0xfffe
	s_mov_b32 s13, s12
	s_delay_alu instid0(VALU_DEP_2)
	v_add_co_u32 v2, vcc_lo, v2, v10
	s_wait_alu 0xfffd
	v_add_co_ci_u32_e64 v3, null, v3, v11, vcc_lo
	s_mov_b32 s14, s12
	v_add_co_u32 v10, vcc_lo, v2, v30
	s_mov_b32 s15, s12
	v_mov_b32_e32 v4, 33
	v_mov_b32_e32 v6, v5
	v_readfirstlane_b32 s6, v2
	v_readfirstlane_b32 s7, v3
	v_mov_b32_e32 v12, s12
	s_wait_alu 0xfffd
	v_add_co_ci_u32_e64 v11, null, 0, v3, vcc_lo
	s_wait_alu 0xfffe
	v_dual_mov_b32 v13, s13 :: v_dual_mov_b32 v14, s14
	v_mov_b32_e32 v15, s15
	s_clause 0x3
	global_store_b128 v30, v[4:7], s[6:7]
	global_store_b128 v30, v[12:15], s[6:7] offset:16
	global_store_b128 v30, v[12:15], s[6:7] offset:32
	;; [unrolled: 1-line block ×3, first 2 shown]
	s_and_saveexec_b32 s1, s0
	s_cbranch_execz .LBB3_518
; %bb.511:
	v_mov_b32_e32 v6, 0
	s_mov_b32 s6, exec_lo
	s_clause 0x1
	global_load_b64 v[14:15], v6, s[2:3] offset:32 scope:SCOPE_SYS
	global_load_b64 v[2:3], v6, s[2:3] offset:40
	v_dual_mov_b32 v13, s5 :: v_dual_mov_b32 v12, s4
	s_wait_loadcnt 0x0
	v_and_b32_e32 v3, s5, v3
	v_and_b32_e32 v2, s4, v2
	s_delay_alu instid0(VALU_DEP_2) | instskip(NEXT) | instid1(VALU_DEP_2)
	v_mul_lo_u32 v3, 24, v3
	v_mul_lo_u32 v4, 0, v2
	v_mul_hi_u32 v5, 24, v2
	v_mul_lo_u32 v2, 24, v2
	s_delay_alu instid0(VALU_DEP_3) | instskip(NEXT) | instid1(VALU_DEP_2)
	v_add_nc_u32_e32 v3, v3, v4
	v_add_co_u32 v4, vcc_lo, v0, v2
	s_delay_alu instid0(VALU_DEP_2) | instskip(SKIP_1) | instid1(VALU_DEP_1)
	v_add_nc_u32_e32 v3, v3, v5
	s_wait_alu 0xfffd
	v_add_co_ci_u32_e64 v5, null, v1, v3, vcc_lo
	global_store_b64 v[4:5], v[14:15], off
	global_wb scope:SCOPE_SYS
	s_wait_storecnt 0x0
	global_atomic_cmpswap_b64 v[2:3], v6, v[12:15], s[2:3] offset:32 th:TH_ATOMIC_RETURN scope:SCOPE_SYS
	s_wait_loadcnt 0x0
	v_cmpx_ne_u64_e64 v[2:3], v[14:15]
	s_cbranch_execz .LBB3_514
; %bb.512:
	s_mov_b32 s7, 0
.LBB3_513:                              ; =>This Inner Loop Header: Depth=1
	v_dual_mov_b32 v0, s4 :: v_dual_mov_b32 v1, s5
	s_sleep 1
	global_store_b64 v[4:5], v[2:3], off
	global_wb scope:SCOPE_SYS
	s_wait_storecnt 0x0
	global_atomic_cmpswap_b64 v[0:1], v6, v[0:3], s[2:3] offset:32 th:TH_ATOMIC_RETURN scope:SCOPE_SYS
	s_wait_loadcnt 0x0
	v_cmp_eq_u64_e32 vcc_lo, v[0:1], v[2:3]
	v_dual_mov_b32 v3, v1 :: v_dual_mov_b32 v2, v0
	s_wait_alu 0xfffe
	s_or_b32 s7, vcc_lo, s7
	s_wait_alu 0xfffe
	s_and_not1_b32 exec_lo, exec_lo, s7
	s_cbranch_execnz .LBB3_513
.LBB3_514:
	s_wait_alu 0xfffe
	s_or_b32 exec_lo, exec_lo, s6
	v_mov_b32_e32 v3, 0
	s_mov_b32 s7, exec_lo
	s_mov_b32 s6, exec_lo
	s_wait_alu 0xfffe
	v_mbcnt_lo_u32_b32 v2, s7, 0
	global_load_b64 v[0:1], v3, s[2:3] offset:16
	v_cmpx_eq_u32_e32 0, v2
	s_cbranch_execz .LBB3_516
; %bb.515:
	s_bcnt1_i32_b32 s7, s7
	s_wait_alu 0xfffe
	v_mov_b32_e32 v2, s7
	global_wb scope:SCOPE_SYS
	s_wait_loadcnt 0x0
	s_wait_storecnt 0x0
	global_atomic_add_u64 v[0:1], v[2:3], off offset:8 scope:SCOPE_SYS
.LBB3_516:
	s_or_b32 exec_lo, exec_lo, s6
	s_wait_loadcnt 0x0
	global_load_b64 v[2:3], v[0:1], off offset:16
	s_wait_loadcnt 0x0
	v_cmp_eq_u64_e32 vcc_lo, 0, v[2:3]
	s_cbranch_vccnz .LBB3_518
; %bb.517:
	global_load_b32 v0, v[0:1], off offset:24
	v_mov_b32_e32 v1, 0
	s_wait_loadcnt 0x0
	v_readfirstlane_b32 s6, v0
	global_wb scope:SCOPE_SYS
	s_wait_storecnt 0x0
	global_store_b64 v[2:3], v[0:1], off scope:SCOPE_SYS
	s_and_b32 m0, s6, 0xffffff
	s_sendmsg sendmsg(MSG_INTERRUPT)
.LBB3_518:
	s_wait_alu 0xfffe
	s_or_b32 exec_lo, exec_lo, s1
	s_branch .LBB3_522
.LBB3_519:                              ;   in Loop: Header=BB3_522 Depth=1
	s_wait_alu 0xfffe
	s_or_b32 exec_lo, exec_lo, s1
	s_delay_alu instid0(VALU_DEP_1)
	v_readfirstlane_b32 s1, v0
	s_cmp_eq_u32 s1, 0
	s_cbranch_scc1 .LBB3_521
; %bb.520:                              ;   in Loop: Header=BB3_522 Depth=1
	s_sleep 1
	s_cbranch_execnz .LBB3_522
	s_branch .LBB3_524
.LBB3_521:
	s_branch .LBB3_524
.LBB3_522:                              ; =>This Inner Loop Header: Depth=1
	v_mov_b32_e32 v0, 1
	s_and_saveexec_b32 s1, s0
	s_cbranch_execz .LBB3_519
; %bb.523:                              ;   in Loop: Header=BB3_522 Depth=1
	global_load_b32 v0, v[8:9], off offset:20 scope:SCOPE_SYS
	s_wait_loadcnt 0x0
	global_inv scope:SCOPE_SYS
	v_and_b32_e32 v0, 1, v0
	s_branch .LBB3_519
.LBB3_524:
	global_load_b64 v[0:1], v[10:11], off
	s_and_saveexec_b32 s6, s0
	s_cbranch_execz .LBB3_528
; %bb.525:
	v_mov_b32_e32 v8, 0
	s_clause 0x2
	global_load_b64 v[2:3], v8, s[2:3] offset:40
	global_load_b64 v[11:12], v8, s[2:3] offset:24 scope:SCOPE_SYS
	global_load_b64 v[4:5], v8, s[2:3]
	s_wait_loadcnt 0x2
	v_readfirstlane_b32 s10, v2
	v_readfirstlane_b32 s11, v3
	s_add_nc_u64 s[0:1], s[10:11], 1
	s_wait_alu 0xfffe
	s_add_nc_u64 s[4:5], s[0:1], s[4:5]
	s_wait_alu 0xfffe
	s_cmp_eq_u64 s[4:5], 0
	s_cselect_b32 s1, s1, s5
	s_cselect_b32 s0, s0, s4
	s_wait_alu 0xfffe
	v_mov_b32_e32 v10, s1
	s_and_b64 s[4:5], s[0:1], s[10:11]
	v_mov_b32_e32 v9, s0
	s_wait_alu 0xfffe
	s_mul_u64 s[4:5], s[4:5], 24
	s_wait_loadcnt 0x0
	s_wait_alu 0xfffe
	v_add_co_u32 v6, vcc_lo, v4, s4
	s_wait_alu 0xfffd
	v_add_co_ci_u32_e64 v7, null, s5, v5, vcc_lo
	global_store_b64 v[6:7], v[11:12], off
	global_wb scope:SCOPE_SYS
	s_wait_storecnt 0x0
	global_atomic_cmpswap_b64 v[4:5], v8, v[9:12], s[2:3] offset:24 th:TH_ATOMIC_RETURN scope:SCOPE_SYS
	s_wait_loadcnt 0x0
	v_cmp_ne_u64_e32 vcc_lo, v[4:5], v[11:12]
	s_and_b32 exec_lo, exec_lo, vcc_lo
	s_cbranch_execz .LBB3_528
; %bb.526:
	s_mov_b32 s4, 0
.LBB3_527:                              ; =>This Inner Loop Header: Depth=1
	v_dual_mov_b32 v2, s0 :: v_dual_mov_b32 v3, s1
	s_sleep 1
	global_store_b64 v[6:7], v[4:5], off
	global_wb scope:SCOPE_SYS
	s_wait_storecnt 0x0
	global_atomic_cmpswap_b64 v[2:3], v8, v[2:5], s[2:3] offset:24 th:TH_ATOMIC_RETURN scope:SCOPE_SYS
	s_wait_loadcnt 0x0
	v_cmp_eq_u64_e32 vcc_lo, v[2:3], v[4:5]
	v_dual_mov_b32 v5, v3 :: v_dual_mov_b32 v4, v2
	s_wait_alu 0xfffe
	s_or_b32 s4, vcc_lo, s4
	s_wait_alu 0xfffe
	s_and_not1_b32 exec_lo, exec_lo, s4
	s_cbranch_execnz .LBB3_527
.LBB3_528:
	s_wait_alu 0xfffe
	s_or_b32 exec_lo, exec_lo, s6
	s_getpc_b64 s[4:5]
	s_wait_alu 0xfffe
	s_sext_i32_i16 s5, s5
	s_add_co_u32 s4, s4, .str.28@rel32@lo+12
	s_wait_alu 0xfffe
	s_add_co_ci_u32 s5, s5, .str.28@rel32@hi+24
	s_wait_alu 0xfffe
	s_cmp_lg_u64 s[4:5], 0
	s_cbranch_scc0 .LBB3_607
; %bb.529:
	s_wait_loadcnt 0x0
	v_dual_mov_b32 v7, v1 :: v_dual_and_b32 v6, -3, v0
	v_dual_mov_b32 v3, 0 :: v_dual_mov_b32 v4, 2
	v_mov_b32_e32 v5, 1
	s_mov_b64 s[6:7], 35
	s_branch .LBB3_531
.LBB3_530:                              ;   in Loop: Header=BB3_531 Depth=1
	s_wait_alu 0xfffe
	s_or_b32 exec_lo, exec_lo, s14
	s_sub_nc_u64 s[6:7], s[6:7], s[10:11]
	s_add_nc_u64 s[4:5], s[4:5], s[10:11]
	s_wait_alu 0xfffe
	s_cmp_lg_u64 s[6:7], 0
	s_cbranch_scc0 .LBB3_606
.LBB3_531:                              ; =>This Loop Header: Depth=1
                                        ;     Child Loop BB3_534 Depth 2
                                        ;     Child Loop BB3_541 Depth 2
	;; [unrolled: 1-line block ×11, first 2 shown]
	s_wait_alu 0xfffe
	v_cmp_lt_u64_e64 s0, s[6:7], 56
	v_cmp_gt_u64_e64 s1, s[6:7], 7
	s_and_b32 s0, s0, exec_lo
	s_cselect_b32 s11, s7, 0
	s_cselect_b32 s10, s6, 56
	s_and_b32 vcc_lo, exec_lo, s1
	s_wait_alu 0xfffe
	s_cbranch_vccnz .LBB3_536
; %bb.532:                              ;   in Loop: Header=BB3_531 Depth=1
	s_wait_loadcnt 0x0
	v_mov_b32_e32 v8, 0
	v_mov_b32_e32 v9, 0
	s_cmp_eq_u64 s[6:7], 0
	s_cbranch_scc1 .LBB3_535
; %bb.533:                              ;   in Loop: Header=BB3_531 Depth=1
	s_mov_b64 s[0:1], 0
	s_mov_b64 s[12:13], 0
.LBB3_534:                              ;   Parent Loop BB3_531 Depth=1
                                        ; =>  This Inner Loop Header: Depth=2
	s_wait_alu 0xfffe
	s_add_nc_u64 s[14:15], s[4:5], s[12:13]
	s_add_nc_u64 s[12:13], s[12:13], 1
	global_load_u8 v2, v3, s[14:15]
	s_wait_alu 0xfffe
	s_cmp_lg_u32 s10, s12
	s_wait_loadcnt 0x0
	v_and_b32_e32 v2, 0xffff, v2
	s_delay_alu instid0(VALU_DEP_1) | instskip(SKIP_1) | instid1(VALU_DEP_1)
	v_lshlrev_b64_e32 v[10:11], s0, v[2:3]
	s_add_nc_u64 s[0:1], s[0:1], 8
	v_or_b32_e32 v8, v10, v8
	s_delay_alu instid0(VALU_DEP_2)
	v_or_b32_e32 v9, v11, v9
	s_cbranch_scc1 .LBB3_534
.LBB3_535:                              ;   in Loop: Header=BB3_531 Depth=1
	s_mov_b64 s[12:13], s[4:5]
	s_mov_b32 s16, 0
	s_cbranch_execz .LBB3_537
	s_branch .LBB3_538
.LBB3_536:                              ;   in Loop: Header=BB3_531 Depth=1
	s_add_nc_u64 s[12:13], s[4:5], 8
	s_mov_b32 s16, 0
.LBB3_537:                              ;   in Loop: Header=BB3_531 Depth=1
	s_wait_loadcnt 0x0
	global_load_b64 v[8:9], v3, s[4:5]
	s_add_co_i32 s16, s10, -8
.LBB3_538:                              ;   in Loop: Header=BB3_531 Depth=1
	s_wait_alu 0xfffe
	s_cmp_gt_u32 s16, 7
	s_cbranch_scc1 .LBB3_543
; %bb.539:                              ;   in Loop: Header=BB3_531 Depth=1
	v_mov_b32_e32 v10, 0
	v_mov_b32_e32 v11, 0
	s_cmp_eq_u32 s16, 0
	s_cbranch_scc1 .LBB3_542
; %bb.540:                              ;   in Loop: Header=BB3_531 Depth=1
	s_mov_b64 s[0:1], 0
	s_mov_b64 s[14:15], 0
.LBB3_541:                              ;   Parent Loop BB3_531 Depth=1
                                        ; =>  This Inner Loop Header: Depth=2
	s_wait_alu 0xfffe
	s_add_nc_u64 s[18:19], s[12:13], s[14:15]
	s_add_nc_u64 s[14:15], s[14:15], 1
	global_load_u8 v2, v3, s[18:19]
	s_wait_alu 0xfffe
	s_cmp_lg_u32 s16, s14
	s_wait_loadcnt 0x0
	v_and_b32_e32 v2, 0xffff, v2
	s_delay_alu instid0(VALU_DEP_1) | instskip(SKIP_1) | instid1(VALU_DEP_1)
	v_lshlrev_b64_e32 v[12:13], s0, v[2:3]
	s_add_nc_u64 s[0:1], s[0:1], 8
	v_or_b32_e32 v10, v12, v10
	s_delay_alu instid0(VALU_DEP_2)
	v_or_b32_e32 v11, v13, v11
	s_cbranch_scc1 .LBB3_541
.LBB3_542:                              ;   in Loop: Header=BB3_531 Depth=1
	s_mov_b64 s[0:1], s[12:13]
	s_mov_b32 s18, 0
	s_cbranch_execz .LBB3_544
	s_branch .LBB3_545
.LBB3_543:                              ;   in Loop: Header=BB3_531 Depth=1
	s_add_nc_u64 s[0:1], s[12:13], 8
                                        ; implicit-def: $vgpr10_vgpr11
	s_mov_b32 s18, 0
.LBB3_544:                              ;   in Loop: Header=BB3_531 Depth=1
	global_load_b64 v[10:11], v3, s[12:13]
	s_add_co_i32 s18, s16, -8
.LBB3_545:                              ;   in Loop: Header=BB3_531 Depth=1
	s_wait_alu 0xfffe
	s_cmp_gt_u32 s18, 7
	s_cbranch_scc1 .LBB3_550
; %bb.546:                              ;   in Loop: Header=BB3_531 Depth=1
	v_mov_b32_e32 v12, 0
	v_mov_b32_e32 v13, 0
	s_cmp_eq_u32 s18, 0
	s_cbranch_scc1 .LBB3_549
; %bb.547:                              ;   in Loop: Header=BB3_531 Depth=1
	s_mov_b64 s[12:13], 0
	s_mov_b64 s[14:15], 0
.LBB3_548:                              ;   Parent Loop BB3_531 Depth=1
                                        ; =>  This Inner Loop Header: Depth=2
	s_wait_alu 0xfffe
	s_add_nc_u64 s[24:25], s[0:1], s[14:15]
	s_add_nc_u64 s[14:15], s[14:15], 1
	global_load_u8 v2, v3, s[24:25]
	s_wait_alu 0xfffe
	s_cmp_lg_u32 s18, s14
	s_wait_loadcnt 0x0
	v_and_b32_e32 v2, 0xffff, v2
	s_delay_alu instid0(VALU_DEP_1) | instskip(SKIP_1) | instid1(VALU_DEP_1)
	v_lshlrev_b64_e32 v[14:15], s12, v[2:3]
	s_add_nc_u64 s[12:13], s[12:13], 8
	v_or_b32_e32 v12, v14, v12
	s_delay_alu instid0(VALU_DEP_2)
	v_or_b32_e32 v13, v15, v13
	s_cbranch_scc1 .LBB3_548
.LBB3_549:                              ;   in Loop: Header=BB3_531 Depth=1
	s_mov_b64 s[12:13], s[0:1]
	s_mov_b32 s16, 0
	s_cbranch_execz .LBB3_551
	s_branch .LBB3_552
.LBB3_550:                              ;   in Loop: Header=BB3_531 Depth=1
	s_add_nc_u64 s[12:13], s[0:1], 8
	s_mov_b32 s16, 0
.LBB3_551:                              ;   in Loop: Header=BB3_531 Depth=1
	global_load_b64 v[12:13], v3, s[0:1]
	s_add_co_i32 s16, s18, -8
.LBB3_552:                              ;   in Loop: Header=BB3_531 Depth=1
	s_wait_alu 0xfffe
	s_cmp_gt_u32 s16, 7
	s_cbranch_scc1 .LBB3_557
; %bb.553:                              ;   in Loop: Header=BB3_531 Depth=1
	v_mov_b32_e32 v14, 0
	v_mov_b32_e32 v15, 0
	s_cmp_eq_u32 s16, 0
	s_cbranch_scc1 .LBB3_556
; %bb.554:                              ;   in Loop: Header=BB3_531 Depth=1
	s_mov_b64 s[0:1], 0
	s_mov_b64 s[14:15], 0
.LBB3_555:                              ;   Parent Loop BB3_531 Depth=1
                                        ; =>  This Inner Loop Header: Depth=2
	s_wait_alu 0xfffe
	s_add_nc_u64 s[18:19], s[12:13], s[14:15]
	s_add_nc_u64 s[14:15], s[14:15], 1
	global_load_u8 v2, v3, s[18:19]
	s_wait_alu 0xfffe
	s_cmp_lg_u32 s16, s14
	s_wait_loadcnt 0x0
	v_and_b32_e32 v2, 0xffff, v2
	s_delay_alu instid0(VALU_DEP_1) | instskip(SKIP_1) | instid1(VALU_DEP_1)
	v_lshlrev_b64_e32 v[16:17], s0, v[2:3]
	s_add_nc_u64 s[0:1], s[0:1], 8
	v_or_b32_e32 v14, v16, v14
	s_delay_alu instid0(VALU_DEP_2)
	v_or_b32_e32 v15, v17, v15
	s_cbranch_scc1 .LBB3_555
.LBB3_556:                              ;   in Loop: Header=BB3_531 Depth=1
	s_mov_b64 s[0:1], s[12:13]
	s_mov_b32 s18, 0
	s_cbranch_execz .LBB3_558
	s_branch .LBB3_559
.LBB3_557:                              ;   in Loop: Header=BB3_531 Depth=1
	s_add_nc_u64 s[0:1], s[12:13], 8
                                        ; implicit-def: $vgpr14_vgpr15
	s_mov_b32 s18, 0
.LBB3_558:                              ;   in Loop: Header=BB3_531 Depth=1
	global_load_b64 v[14:15], v3, s[12:13]
	s_add_co_i32 s18, s16, -8
.LBB3_559:                              ;   in Loop: Header=BB3_531 Depth=1
	s_wait_alu 0xfffe
	s_cmp_gt_u32 s18, 7
	s_cbranch_scc1 .LBB3_564
; %bb.560:                              ;   in Loop: Header=BB3_531 Depth=1
	v_mov_b32_e32 v16, 0
	v_mov_b32_e32 v17, 0
	s_cmp_eq_u32 s18, 0
	s_cbranch_scc1 .LBB3_563
; %bb.561:                              ;   in Loop: Header=BB3_531 Depth=1
	s_mov_b64 s[12:13], 0
	s_mov_b64 s[14:15], 0
.LBB3_562:                              ;   Parent Loop BB3_531 Depth=1
                                        ; =>  This Inner Loop Header: Depth=2
	s_wait_alu 0xfffe
	s_add_nc_u64 s[24:25], s[0:1], s[14:15]
	s_add_nc_u64 s[14:15], s[14:15], 1
	global_load_u8 v2, v3, s[24:25]
	s_wait_alu 0xfffe
	s_cmp_lg_u32 s18, s14
	s_wait_loadcnt 0x0
	v_and_b32_e32 v2, 0xffff, v2
	s_delay_alu instid0(VALU_DEP_1) | instskip(SKIP_1) | instid1(VALU_DEP_1)
	v_lshlrev_b64_e32 v[18:19], s12, v[2:3]
	s_add_nc_u64 s[12:13], s[12:13], 8
	v_or_b32_e32 v16, v18, v16
	s_delay_alu instid0(VALU_DEP_2)
	v_or_b32_e32 v17, v19, v17
	s_cbranch_scc1 .LBB3_562
.LBB3_563:                              ;   in Loop: Header=BB3_531 Depth=1
	s_mov_b64 s[12:13], s[0:1]
	s_mov_b32 s16, 0
	s_cbranch_execz .LBB3_565
	s_branch .LBB3_566
.LBB3_564:                              ;   in Loop: Header=BB3_531 Depth=1
	s_add_nc_u64 s[12:13], s[0:1], 8
	s_mov_b32 s16, 0
.LBB3_565:                              ;   in Loop: Header=BB3_531 Depth=1
	global_load_b64 v[16:17], v3, s[0:1]
	s_add_co_i32 s16, s18, -8
.LBB3_566:                              ;   in Loop: Header=BB3_531 Depth=1
	s_wait_alu 0xfffe
	s_cmp_gt_u32 s16, 7
	s_cbranch_scc1 .LBB3_571
; %bb.567:                              ;   in Loop: Header=BB3_531 Depth=1
	v_mov_b32_e32 v18, 0
	v_mov_b32_e32 v19, 0
	s_cmp_eq_u32 s16, 0
	s_cbranch_scc1 .LBB3_570
; %bb.568:                              ;   in Loop: Header=BB3_531 Depth=1
	s_mov_b64 s[0:1], 0
	s_mov_b64 s[14:15], 0
.LBB3_569:                              ;   Parent Loop BB3_531 Depth=1
                                        ; =>  This Inner Loop Header: Depth=2
	s_wait_alu 0xfffe
	s_add_nc_u64 s[18:19], s[12:13], s[14:15]
	s_add_nc_u64 s[14:15], s[14:15], 1
	global_load_u8 v2, v3, s[18:19]
	s_wait_alu 0xfffe
	s_cmp_lg_u32 s16, s14
	s_wait_loadcnt 0x0
	v_and_b32_e32 v2, 0xffff, v2
	s_delay_alu instid0(VALU_DEP_1) | instskip(SKIP_1) | instid1(VALU_DEP_1)
	v_lshlrev_b64_e32 v[20:21], s0, v[2:3]
	s_add_nc_u64 s[0:1], s[0:1], 8
	v_or_b32_e32 v18, v20, v18
	s_delay_alu instid0(VALU_DEP_2)
	v_or_b32_e32 v19, v21, v19
	s_cbranch_scc1 .LBB3_569
.LBB3_570:                              ;   in Loop: Header=BB3_531 Depth=1
	s_mov_b64 s[0:1], s[12:13]
	s_mov_b32 s18, 0
	s_cbranch_execz .LBB3_572
	s_branch .LBB3_573
.LBB3_571:                              ;   in Loop: Header=BB3_531 Depth=1
	s_add_nc_u64 s[0:1], s[12:13], 8
                                        ; implicit-def: $vgpr18_vgpr19
	s_mov_b32 s18, 0
.LBB3_572:                              ;   in Loop: Header=BB3_531 Depth=1
	global_load_b64 v[18:19], v3, s[12:13]
	s_add_co_i32 s18, s16, -8
.LBB3_573:                              ;   in Loop: Header=BB3_531 Depth=1
	s_wait_alu 0xfffe
	s_cmp_gt_u32 s18, 7
	s_cbranch_scc1 .LBB3_578
; %bb.574:                              ;   in Loop: Header=BB3_531 Depth=1
	v_mov_b32_e32 v20, 0
	v_mov_b32_e32 v21, 0
	s_cmp_eq_u32 s18, 0
	s_cbranch_scc1 .LBB3_577
; %bb.575:                              ;   in Loop: Header=BB3_531 Depth=1
	s_mov_b64 s[12:13], 0
	s_mov_b64 s[14:15], s[0:1]
.LBB3_576:                              ;   Parent Loop BB3_531 Depth=1
                                        ; =>  This Inner Loop Header: Depth=2
	global_load_u8 v2, v3, s[14:15]
	s_add_co_i32 s18, s18, -1
	s_wait_alu 0xfffe
	s_add_nc_u64 s[14:15], s[14:15], 1
	s_cmp_lg_u32 s18, 0
	s_wait_loadcnt 0x0
	v_and_b32_e32 v2, 0xffff, v2
	s_delay_alu instid0(VALU_DEP_1) | instskip(SKIP_1) | instid1(VALU_DEP_1)
	v_lshlrev_b64_e32 v[22:23], s12, v[2:3]
	s_add_nc_u64 s[12:13], s[12:13], 8
	v_or_b32_e32 v20, v22, v20
	s_delay_alu instid0(VALU_DEP_2)
	v_or_b32_e32 v21, v23, v21
	s_cbranch_scc1 .LBB3_576
.LBB3_577:                              ;   in Loop: Header=BB3_531 Depth=1
	s_cbranch_execz .LBB3_579
	s_branch .LBB3_580
.LBB3_578:                              ;   in Loop: Header=BB3_531 Depth=1
.LBB3_579:                              ;   in Loop: Header=BB3_531 Depth=1
	global_load_b64 v[20:21], v3, s[0:1]
.LBB3_580:                              ;   in Loop: Header=BB3_531 Depth=1
	v_readfirstlane_b32 s0, v31
	v_mov_b32_e32 v26, 0
	v_mov_b32_e32 v27, 0
	s_wait_alu 0xf1ff
	s_delay_alu instid0(VALU_DEP_3)
	v_cmp_eq_u32_e64 s0, s0, v31
	s_and_saveexec_b32 s1, s0
	s_cbranch_execz .LBB3_586
; %bb.581:                              ;   in Loop: Header=BB3_531 Depth=1
	global_load_b64 v[24:25], v3, s[2:3] offset:24 scope:SCOPE_SYS
	s_wait_loadcnt 0x0
	global_inv scope:SCOPE_SYS
	s_clause 0x1
	global_load_b64 v[22:23], v3, s[2:3] offset:40
	global_load_b64 v[26:27], v3, s[2:3]
	s_mov_b32 s12, exec_lo
	s_wait_loadcnt 0x1
	v_and_b32_e32 v2, v23, v25
	v_and_b32_e32 v22, v22, v24
	s_delay_alu instid0(VALU_DEP_2) | instskip(NEXT) | instid1(VALU_DEP_2)
	v_mul_lo_u32 v2, 24, v2
	v_mul_lo_u32 v23, 0, v22
	v_mul_hi_u32 v28, 24, v22
	v_mul_lo_u32 v22, 24, v22
	s_delay_alu instid0(VALU_DEP_3) | instskip(SKIP_1) | instid1(VALU_DEP_2)
	v_add_nc_u32_e32 v2, v2, v23
	s_wait_loadcnt 0x0
	v_add_co_u32 v22, vcc_lo, v26, v22
	s_delay_alu instid0(VALU_DEP_2) | instskip(SKIP_1) | instid1(VALU_DEP_1)
	v_add_nc_u32_e32 v2, v2, v28
	s_wait_alu 0xfffd
	v_add_co_ci_u32_e64 v23, null, v27, v2, vcc_lo
	global_load_b64 v[22:23], v[22:23], off scope:SCOPE_SYS
	s_wait_loadcnt 0x0
	global_atomic_cmpswap_b64 v[26:27], v3, v[22:25], s[2:3] offset:24 th:TH_ATOMIC_RETURN scope:SCOPE_SYS
	s_wait_loadcnt 0x0
	global_inv scope:SCOPE_SYS
	v_cmpx_ne_u64_e64 v[26:27], v[24:25]
	s_cbranch_execz .LBB3_585
; %bb.582:                              ;   in Loop: Header=BB3_531 Depth=1
	s_mov_b32 s13, 0
.LBB3_583:                              ;   Parent Loop BB3_531 Depth=1
                                        ; =>  This Inner Loop Header: Depth=2
	s_sleep 1
	s_clause 0x1
	global_load_b64 v[22:23], v3, s[2:3] offset:40
	global_load_b64 v[28:29], v3, s[2:3]
	v_dual_mov_b32 v24, v26 :: v_dual_mov_b32 v25, v27
	s_wait_loadcnt 0x1
	s_delay_alu instid0(VALU_DEP_1) | instskip(NEXT) | instid1(VALU_DEP_2)
	v_and_b32_e32 v2, v22, v24
	v_and_b32_e32 v22, v23, v25
	s_wait_loadcnt 0x0
	s_delay_alu instid0(VALU_DEP_2) | instskip(NEXT) | instid1(VALU_DEP_1)
	v_mad_co_u64_u32 v[26:27], null, v2, 24, v[28:29]
	v_mov_b32_e32 v2, v27
	s_delay_alu instid0(VALU_DEP_1) | instskip(NEXT) | instid1(VALU_DEP_1)
	v_mad_co_u64_u32 v[22:23], null, v22, 24, v[2:3]
	v_mov_b32_e32 v27, v22
	global_load_b64 v[22:23], v[26:27], off scope:SCOPE_SYS
	s_wait_loadcnt 0x0
	global_atomic_cmpswap_b64 v[26:27], v3, v[22:25], s[2:3] offset:24 th:TH_ATOMIC_RETURN scope:SCOPE_SYS
	s_wait_loadcnt 0x0
	global_inv scope:SCOPE_SYS
	v_cmp_eq_u64_e32 vcc_lo, v[26:27], v[24:25]
	s_wait_alu 0xfffe
	s_or_b32 s13, vcc_lo, s13
	s_wait_alu 0xfffe
	s_and_not1_b32 exec_lo, exec_lo, s13
	s_cbranch_execnz .LBB3_583
; %bb.584:                              ;   in Loop: Header=BB3_531 Depth=1
	s_or_b32 exec_lo, exec_lo, s13
.LBB3_585:                              ;   in Loop: Header=BB3_531 Depth=1
	s_wait_alu 0xfffe
	s_or_b32 exec_lo, exec_lo, s12
.LBB3_586:                              ;   in Loop: Header=BB3_531 Depth=1
	s_wait_alu 0xfffe
	s_or_b32 exec_lo, exec_lo, s1
	s_clause 0x1
	global_load_b64 v[28:29], v3, s[2:3] offset:40
	global_load_b128 v[22:25], v3, s[2:3]
	v_readfirstlane_b32 s13, v27
	v_readfirstlane_b32 s12, v26
	s_mov_b32 s1, exec_lo
	s_wait_loadcnt 0x1
	s_wait_alu 0xf1ff
	v_and_b32_e32 v29, s13, v29
	v_and_b32_e32 v28, s12, v28
	s_delay_alu instid0(VALU_DEP_2) | instskip(NEXT) | instid1(VALU_DEP_2)
	v_mul_lo_u32 v2, 24, v29
	v_mul_lo_u32 v26, 0, v28
	v_mul_hi_u32 v27, 24, v28
	v_mul_lo_u32 v32, 24, v28
	s_delay_alu instid0(VALU_DEP_3) | instskip(SKIP_1) | instid1(VALU_DEP_2)
	v_add_nc_u32_e32 v2, v2, v26
	s_wait_loadcnt 0x0
	v_add_co_u32 v26, vcc_lo, v22, v32
	s_delay_alu instid0(VALU_DEP_2) | instskip(SKIP_1) | instid1(VALU_DEP_1)
	v_add_nc_u32_e32 v2, v2, v27
	s_wait_alu 0xfffd
	v_add_co_ci_u32_e64 v27, null, v23, v2, vcc_lo
	s_and_saveexec_b32 s14, s0
	s_cbranch_execz .LBB3_588
; %bb.587:                              ;   in Loop: Header=BB3_531 Depth=1
	s_wait_alu 0xfffe
	v_mov_b32_e32 v2, s1
	global_store_b128 v[26:27], v[2:5], off offset:8
.LBB3_588:                              ;   in Loop: Header=BB3_531 Depth=1
	s_wait_alu 0xfffe
	s_or_b32 exec_lo, exec_lo, s14
	v_cmp_gt_u64_e64 s1, s[6:7], 56
	v_lshlrev_b64_e32 v[28:29], 12, v[28:29]
	v_and_b32_e32 v2, 0xffffff1f, v6
	s_and_b32 s1, s1, exec_lo
	s_delay_alu instid0(VALU_DEP_2)
	v_add_co_u32 v24, vcc_lo, v24, v28
	s_cselect_b32 s1, 0, 2
	s_wait_alu 0xfffd
	v_add_co_ci_u32_e64 v25, null, v25, v29, vcc_lo
	s_wait_alu 0xfffe
	v_or_b32_e32 v2, s1, v2
	s_lshl_b32 s14, s10, 2
	s_wait_alu 0xfffe
	s_add_co_i32 s1, s14, 28
	v_readfirstlane_b32 s14, v24
	v_readfirstlane_b32 s15, v25
	s_wait_alu 0xfffe
	v_and_or_b32 v6, 0x1e0, s1, v2
	s_clause 0x3
	global_store_b128 v30, v[6:9], s[14:15]
	global_store_b128 v30, v[10:13], s[14:15] offset:16
	global_store_b128 v30, v[14:17], s[14:15] offset:32
	;; [unrolled: 1-line block ×3, first 2 shown]
	s_and_saveexec_b32 s1, s0
	s_cbranch_execz .LBB3_596
; %bb.589:                              ;   in Loop: Header=BB3_531 Depth=1
	s_clause 0x1
	global_load_b64 v[14:15], v3, s[2:3] offset:32 scope:SCOPE_SYS
	global_load_b64 v[6:7], v3, s[2:3] offset:40
	v_mov_b32_e32 v12, s12
	s_mov_b32 s14, exec_lo
	s_wait_loadcnt 0x0
	v_dual_mov_b32 v13, s13 :: v_dual_and_b32 v2, s13, v7
	v_and_b32_e32 v6, s12, v6
	s_delay_alu instid0(VALU_DEP_2) | instskip(NEXT) | instid1(VALU_DEP_2)
	v_mul_lo_u32 v2, 24, v2
	v_mul_lo_u32 v7, 0, v6
	v_mul_hi_u32 v8, 24, v6
	v_mul_lo_u32 v6, 24, v6
	s_delay_alu instid0(VALU_DEP_3) | instskip(NEXT) | instid1(VALU_DEP_2)
	v_add_nc_u32_e32 v2, v2, v7
	v_add_co_u32 v10, vcc_lo, v22, v6
	s_delay_alu instid0(VALU_DEP_2) | instskip(SKIP_1) | instid1(VALU_DEP_1)
	v_add_nc_u32_e32 v2, v2, v8
	s_wait_alu 0xfffd
	v_add_co_ci_u32_e64 v11, null, v23, v2, vcc_lo
	global_store_b64 v[10:11], v[14:15], off
	global_wb scope:SCOPE_SYS
	s_wait_storecnt 0x0
	global_atomic_cmpswap_b64 v[8:9], v3, v[12:15], s[2:3] offset:32 th:TH_ATOMIC_RETURN scope:SCOPE_SYS
	s_wait_loadcnt 0x0
	v_cmpx_ne_u64_e64 v[8:9], v[14:15]
	s_cbranch_execz .LBB3_592
; %bb.590:                              ;   in Loop: Header=BB3_531 Depth=1
	s_mov_b32 s15, 0
.LBB3_591:                              ;   Parent Loop BB3_531 Depth=1
                                        ; =>  This Inner Loop Header: Depth=2
	v_dual_mov_b32 v6, s12 :: v_dual_mov_b32 v7, s13
	s_sleep 1
	global_store_b64 v[10:11], v[8:9], off
	global_wb scope:SCOPE_SYS
	s_wait_storecnt 0x0
	global_atomic_cmpswap_b64 v[6:7], v3, v[6:9], s[2:3] offset:32 th:TH_ATOMIC_RETURN scope:SCOPE_SYS
	s_wait_loadcnt 0x0
	v_cmp_eq_u64_e32 vcc_lo, v[6:7], v[8:9]
	v_dual_mov_b32 v9, v7 :: v_dual_mov_b32 v8, v6
	s_wait_alu 0xfffe
	s_or_b32 s15, vcc_lo, s15
	s_wait_alu 0xfffe
	s_and_not1_b32 exec_lo, exec_lo, s15
	s_cbranch_execnz .LBB3_591
.LBB3_592:                              ;   in Loop: Header=BB3_531 Depth=1
	s_wait_alu 0xfffe
	s_or_b32 exec_lo, exec_lo, s14
	global_load_b64 v[6:7], v3, s[2:3] offset:16
	s_mov_b32 s15, exec_lo
	s_mov_b32 s14, exec_lo
	s_wait_alu 0xfffe
	v_mbcnt_lo_u32_b32 v2, s15, 0
	s_delay_alu instid0(VALU_DEP_1)
	v_cmpx_eq_u32_e32 0, v2
	s_cbranch_execz .LBB3_594
; %bb.593:                              ;   in Loop: Header=BB3_531 Depth=1
	s_bcnt1_i32_b32 s15, s15
	s_wait_alu 0xfffe
	v_mov_b32_e32 v2, s15
	global_wb scope:SCOPE_SYS
	s_wait_loadcnt 0x0
	s_wait_storecnt 0x0
	global_atomic_add_u64 v[6:7], v[2:3], off offset:8 scope:SCOPE_SYS
.LBB3_594:                              ;   in Loop: Header=BB3_531 Depth=1
	s_or_b32 exec_lo, exec_lo, s14
	s_wait_loadcnt 0x0
	global_load_b64 v[8:9], v[6:7], off offset:16
	s_wait_loadcnt 0x0
	v_cmp_eq_u64_e32 vcc_lo, 0, v[8:9]
	s_cbranch_vccnz .LBB3_596
; %bb.595:                              ;   in Loop: Header=BB3_531 Depth=1
	global_load_b32 v2, v[6:7], off offset:24
	s_wait_loadcnt 0x0
	v_readfirstlane_b32 s14, v2
	global_wb scope:SCOPE_SYS
	s_wait_storecnt 0x0
	global_store_b64 v[8:9], v[2:3], off scope:SCOPE_SYS
	s_and_b32 m0, s14, 0xffffff
	s_sendmsg sendmsg(MSG_INTERRUPT)
.LBB3_596:                              ;   in Loop: Header=BB3_531 Depth=1
	s_wait_alu 0xfffe
	s_or_b32 exec_lo, exec_lo, s1
	v_add_co_u32 v6, vcc_lo, v24, v30
	s_wait_alu 0xfffd
	v_add_co_ci_u32_e64 v7, null, 0, v25, vcc_lo
	s_branch .LBB3_600
.LBB3_597:                              ;   in Loop: Header=BB3_600 Depth=2
	s_wait_alu 0xfffe
	s_or_b32 exec_lo, exec_lo, s1
	s_delay_alu instid0(VALU_DEP_1)
	v_readfirstlane_b32 s1, v2
	s_cmp_eq_u32 s1, 0
	s_cbranch_scc1 .LBB3_599
; %bb.598:                              ;   in Loop: Header=BB3_600 Depth=2
	s_sleep 1
	s_cbranch_execnz .LBB3_600
	s_branch .LBB3_602
.LBB3_599:                              ;   in Loop: Header=BB3_531 Depth=1
	s_branch .LBB3_602
.LBB3_600:                              ;   Parent Loop BB3_531 Depth=1
                                        ; =>  This Inner Loop Header: Depth=2
	v_mov_b32_e32 v2, 1
	s_and_saveexec_b32 s1, s0
	s_cbranch_execz .LBB3_597
; %bb.601:                              ;   in Loop: Header=BB3_600 Depth=2
	global_load_b32 v2, v[26:27], off offset:20 scope:SCOPE_SYS
	s_wait_loadcnt 0x0
	global_inv scope:SCOPE_SYS
	v_and_b32_e32 v2, 1, v2
	s_branch .LBB3_597
.LBB3_602:                              ;   in Loop: Header=BB3_531 Depth=1
	global_load_b128 v[6:9], v[6:7], off
	s_and_saveexec_b32 s14, s0
	s_cbranch_execz .LBB3_530
; %bb.603:                              ;   in Loop: Header=BB3_531 Depth=1
	s_wait_loadcnt 0x0
	s_clause 0x2
	global_load_b64 v[8:9], v3, s[2:3] offset:40
	global_load_b64 v[16:17], v3, s[2:3] offset:24 scope:SCOPE_SYS
	global_load_b64 v[10:11], v3, s[2:3]
	s_wait_loadcnt 0x2
	v_readfirstlane_b32 s18, v8
	v_readfirstlane_b32 s19, v9
	s_add_nc_u64 s[0:1], s[18:19], 1
	s_wait_alu 0xfffe
	s_add_nc_u64 s[12:13], s[0:1], s[12:13]
	s_wait_alu 0xfffe
	s_cmp_eq_u64 s[12:13], 0
	s_cselect_b32 s1, s1, s13
	s_cselect_b32 s0, s0, s12
	s_wait_alu 0xfffe
	v_dual_mov_b32 v15, s1 :: v_dual_mov_b32 v14, s0
	s_and_b64 s[12:13], s[0:1], s[18:19]
	s_wait_alu 0xfffe
	s_mul_u64 s[12:13], s[12:13], 24
	s_wait_loadcnt 0x0
	s_wait_alu 0xfffe
	v_add_co_u32 v12, vcc_lo, v10, s12
	s_wait_alu 0xfffd
	v_add_co_ci_u32_e64 v13, null, s13, v11, vcc_lo
	global_store_b64 v[12:13], v[16:17], off
	global_wb scope:SCOPE_SYS
	s_wait_storecnt 0x0
	global_atomic_cmpswap_b64 v[10:11], v3, v[14:17], s[2:3] offset:24 th:TH_ATOMIC_RETURN scope:SCOPE_SYS
	s_wait_loadcnt 0x0
	v_cmp_ne_u64_e32 vcc_lo, v[10:11], v[16:17]
	s_and_b32 exec_lo, exec_lo, vcc_lo
	s_cbranch_execz .LBB3_530
; %bb.604:                              ;   in Loop: Header=BB3_531 Depth=1
	s_mov_b32 s12, 0
.LBB3_605:                              ;   Parent Loop BB3_531 Depth=1
                                        ; =>  This Inner Loop Header: Depth=2
	v_dual_mov_b32 v8, s0 :: v_dual_mov_b32 v9, s1
	s_sleep 1
	global_store_b64 v[12:13], v[10:11], off
	global_wb scope:SCOPE_SYS
	s_wait_storecnt 0x0
	global_atomic_cmpswap_b64 v[8:9], v3, v[8:11], s[2:3] offset:24 th:TH_ATOMIC_RETURN scope:SCOPE_SYS
	s_wait_loadcnt 0x0
	v_cmp_eq_u64_e32 vcc_lo, v[8:9], v[10:11]
	v_dual_mov_b32 v11, v9 :: v_dual_mov_b32 v10, v8
	s_wait_alu 0xfffe
	s_or_b32 s12, vcc_lo, s12
	s_wait_alu 0xfffe
	s_and_not1_b32 exec_lo, exec_lo, s12
	s_cbranch_execnz .LBB3_605
	s_branch .LBB3_530
.LBB3_606:
	s_mov_b32 s0, 0
	s_branch .LBB3_608
.LBB3_607:
	s_mov_b32 s0, -1
.LBB3_608:
	s_wait_alu 0xfffe
	s_and_b32 vcc_lo, exec_lo, s0
	s_wait_alu 0xfffe
	s_cbranch_vccz .LBB3_636
; %bb.609:
	v_readfirstlane_b32 s0, v31
	s_wait_loadcnt 0x0
	v_mov_b32_e32 v8, 0
	v_mov_b32_e32 v9, 0
	s_wait_alu 0xf1ff
	v_cmp_eq_u32_e64 s0, s0, v31
	s_and_saveexec_b32 s1, s0
	s_cbranch_execz .LBB3_615
; %bb.610:
	v_mov_b32_e32 v2, 0
	s_mov_b32 s4, exec_lo
	global_load_b64 v[5:6], v2, s[2:3] offset:24 scope:SCOPE_SYS
	s_wait_loadcnt 0x0
	global_inv scope:SCOPE_SYS
	s_clause 0x1
	global_load_b64 v[3:4], v2, s[2:3] offset:40
	global_load_b64 v[7:8], v2, s[2:3]
	s_wait_loadcnt 0x1
	v_and_b32_e32 v4, v4, v6
	v_and_b32_e32 v3, v3, v5
	s_delay_alu instid0(VALU_DEP_2) | instskip(NEXT) | instid1(VALU_DEP_2)
	v_mul_lo_u32 v4, 24, v4
	v_mul_lo_u32 v9, 0, v3
	v_mul_hi_u32 v10, 24, v3
	v_mul_lo_u32 v3, 24, v3
	s_delay_alu instid0(VALU_DEP_3) | instskip(SKIP_1) | instid1(VALU_DEP_2)
	v_add_nc_u32_e32 v4, v4, v9
	s_wait_loadcnt 0x0
	v_add_co_u32 v3, vcc_lo, v7, v3
	s_delay_alu instid0(VALU_DEP_2) | instskip(SKIP_1) | instid1(VALU_DEP_1)
	v_add_nc_u32_e32 v4, v4, v10
	s_wait_alu 0xfffd
	v_add_co_ci_u32_e64 v4, null, v8, v4, vcc_lo
	global_load_b64 v[3:4], v[3:4], off scope:SCOPE_SYS
	s_wait_loadcnt 0x0
	global_atomic_cmpswap_b64 v[8:9], v2, v[3:6], s[2:3] offset:24 th:TH_ATOMIC_RETURN scope:SCOPE_SYS
	s_wait_loadcnt 0x0
	global_inv scope:SCOPE_SYS
	v_cmpx_ne_u64_e64 v[8:9], v[5:6]
	s_cbranch_execz .LBB3_614
; %bb.611:
	s_mov_b32 s5, 0
.LBB3_612:                              ; =>This Inner Loop Header: Depth=1
	s_sleep 1
	s_clause 0x1
	global_load_b64 v[3:4], v2, s[2:3] offset:40
	global_load_b64 v[10:11], v2, s[2:3]
	v_dual_mov_b32 v5, v8 :: v_dual_mov_b32 v6, v9
	s_wait_loadcnt 0x1
	s_delay_alu instid0(VALU_DEP_1) | instskip(NEXT) | instid1(VALU_DEP_2)
	v_and_b32_e32 v3, v3, v5
	v_and_b32_e32 v4, v4, v6
	s_wait_loadcnt 0x0
	s_delay_alu instid0(VALU_DEP_2) | instskip(NEXT) | instid1(VALU_DEP_1)
	v_mad_co_u64_u32 v[7:8], null, v3, 24, v[10:11]
	v_mov_b32_e32 v3, v8
	s_delay_alu instid0(VALU_DEP_1) | instskip(NEXT) | instid1(VALU_DEP_1)
	v_mad_co_u64_u32 v[3:4], null, v4, 24, v[3:4]
	v_mov_b32_e32 v8, v3
	global_load_b64 v[3:4], v[7:8], off scope:SCOPE_SYS
	s_wait_loadcnt 0x0
	global_atomic_cmpswap_b64 v[8:9], v2, v[3:6], s[2:3] offset:24 th:TH_ATOMIC_RETURN scope:SCOPE_SYS
	s_wait_loadcnt 0x0
	global_inv scope:SCOPE_SYS
	v_cmp_eq_u64_e32 vcc_lo, v[8:9], v[5:6]
	s_wait_alu 0xfffe
	s_or_b32 s5, vcc_lo, s5
	s_wait_alu 0xfffe
	s_and_not1_b32 exec_lo, exec_lo, s5
	s_cbranch_execnz .LBB3_612
; %bb.613:
	s_or_b32 exec_lo, exec_lo, s5
.LBB3_614:
	s_wait_alu 0xfffe
	s_or_b32 exec_lo, exec_lo, s4
.LBB3_615:
	s_wait_alu 0xfffe
	s_or_b32 exec_lo, exec_lo, s1
	v_readfirstlane_b32 s5, v9
	v_mov_b32_e32 v2, 0
	v_readfirstlane_b32 s4, v8
	s_mov_b32 s1, exec_lo
	s_clause 0x1
	global_load_b64 v[10:11], v2, s[2:3] offset:40
	global_load_b128 v[4:7], v2, s[2:3]
	s_wait_loadcnt 0x1
	s_wait_alu 0xf1ff
	v_and_b32_e32 v11, s5, v11
	v_and_b32_e32 v10, s4, v10
	s_delay_alu instid0(VALU_DEP_2) | instskip(NEXT) | instid1(VALU_DEP_2)
	v_mul_lo_u32 v3, 24, v11
	v_mul_lo_u32 v8, 0, v10
	v_mul_hi_u32 v9, 24, v10
	v_mul_lo_u32 v12, 24, v10
	s_delay_alu instid0(VALU_DEP_3) | instskip(SKIP_1) | instid1(VALU_DEP_2)
	v_add_nc_u32_e32 v3, v3, v8
	s_wait_loadcnt 0x0
	v_add_co_u32 v8, vcc_lo, v4, v12
	s_delay_alu instid0(VALU_DEP_2) | instskip(SKIP_1) | instid1(VALU_DEP_1)
	v_add_nc_u32_e32 v3, v3, v9
	s_wait_alu 0xfffd
	v_add_co_ci_u32_e64 v9, null, v5, v3, vcc_lo
	s_and_saveexec_b32 s6, s0
	s_cbranch_execz .LBB3_617
; %bb.616:
	s_wait_alu 0xfffe
	v_dual_mov_b32 v12, s1 :: v_dual_mov_b32 v13, v2
	v_dual_mov_b32 v14, 2 :: v_dual_mov_b32 v15, 1
	global_store_b128 v[8:9], v[12:15], off offset:8
.LBB3_617:
	s_wait_alu 0xfffe
	s_or_b32 exec_lo, exec_lo, s6
	v_lshlrev_b64_e32 v[10:11], 12, v[10:11]
	s_mov_b32 s12, 0
	v_and_or_b32 v0, 0xffffff1d, v0, 34
	s_wait_alu 0xfffe
	s_mov_b32 s13, s12
	s_mov_b32 s14, s12
	;; [unrolled: 1-line block ×3, first 2 shown]
	v_add_co_u32 v6, vcc_lo, v6, v10
	s_wait_alu 0xfffd
	v_add_co_ci_u32_e64 v7, null, v7, v11, vcc_lo
	v_dual_mov_b32 v3, v2 :: v_dual_mov_b32 v10, s12
	s_delay_alu instid0(VALU_DEP_3) | instskip(NEXT) | instid1(VALU_DEP_3)
	v_readfirstlane_b32 s6, v6
	v_readfirstlane_b32 s7, v7
	s_wait_alu 0xfffe
	v_dual_mov_b32 v11, s13 :: v_dual_mov_b32 v12, s14
	v_mov_b32_e32 v13, s15
	s_clause 0x3
	global_store_b128 v30, v[0:3], s[6:7]
	global_store_b128 v30, v[10:13], s[6:7] offset:16
	global_store_b128 v30, v[10:13], s[6:7] offset:32
	;; [unrolled: 1-line block ×3, first 2 shown]
	s_and_saveexec_b32 s1, s0
	s_cbranch_execz .LBB3_625
; %bb.618:
	v_mov_b32_e32 v6, 0
	s_mov_b32 s6, exec_lo
	s_clause 0x1
	global_load_b64 v[12:13], v6, s[2:3] offset:32 scope:SCOPE_SYS
	global_load_b64 v[0:1], v6, s[2:3] offset:40
	v_dual_mov_b32 v11, s5 :: v_dual_mov_b32 v10, s4
	s_wait_loadcnt 0x0
	v_and_b32_e32 v1, s5, v1
	v_and_b32_e32 v0, s4, v0
	s_delay_alu instid0(VALU_DEP_2) | instskip(NEXT) | instid1(VALU_DEP_2)
	v_mul_lo_u32 v1, 24, v1
	v_mul_lo_u32 v2, 0, v0
	v_mul_hi_u32 v3, 24, v0
	v_mul_lo_u32 v0, 24, v0
	s_delay_alu instid0(VALU_DEP_3) | instskip(NEXT) | instid1(VALU_DEP_2)
	v_add_nc_u32_e32 v1, v1, v2
	v_add_co_u32 v4, vcc_lo, v4, v0
	s_delay_alu instid0(VALU_DEP_2) | instskip(SKIP_1) | instid1(VALU_DEP_1)
	v_add_nc_u32_e32 v1, v1, v3
	s_wait_alu 0xfffd
	v_add_co_ci_u32_e64 v5, null, v5, v1, vcc_lo
	global_store_b64 v[4:5], v[12:13], off
	global_wb scope:SCOPE_SYS
	s_wait_storecnt 0x0
	global_atomic_cmpswap_b64 v[2:3], v6, v[10:13], s[2:3] offset:32 th:TH_ATOMIC_RETURN scope:SCOPE_SYS
	s_wait_loadcnt 0x0
	v_cmpx_ne_u64_e64 v[2:3], v[12:13]
	s_cbranch_execz .LBB3_621
; %bb.619:
	s_mov_b32 s7, 0
.LBB3_620:                              ; =>This Inner Loop Header: Depth=1
	v_dual_mov_b32 v0, s4 :: v_dual_mov_b32 v1, s5
	s_sleep 1
	global_store_b64 v[4:5], v[2:3], off
	global_wb scope:SCOPE_SYS
	s_wait_storecnt 0x0
	global_atomic_cmpswap_b64 v[0:1], v6, v[0:3], s[2:3] offset:32 th:TH_ATOMIC_RETURN scope:SCOPE_SYS
	s_wait_loadcnt 0x0
	v_cmp_eq_u64_e32 vcc_lo, v[0:1], v[2:3]
	v_dual_mov_b32 v3, v1 :: v_dual_mov_b32 v2, v0
	s_wait_alu 0xfffe
	s_or_b32 s7, vcc_lo, s7
	s_wait_alu 0xfffe
	s_and_not1_b32 exec_lo, exec_lo, s7
	s_cbranch_execnz .LBB3_620
.LBB3_621:
	s_wait_alu 0xfffe
	s_or_b32 exec_lo, exec_lo, s6
	v_mov_b32_e32 v3, 0
	s_mov_b32 s7, exec_lo
	s_mov_b32 s6, exec_lo
	s_wait_alu 0xfffe
	v_mbcnt_lo_u32_b32 v2, s7, 0
	global_load_b64 v[0:1], v3, s[2:3] offset:16
	v_cmpx_eq_u32_e32 0, v2
	s_cbranch_execz .LBB3_623
; %bb.622:
	s_bcnt1_i32_b32 s7, s7
	s_wait_alu 0xfffe
	v_mov_b32_e32 v2, s7
	global_wb scope:SCOPE_SYS
	s_wait_loadcnt 0x0
	s_wait_storecnt 0x0
	global_atomic_add_u64 v[0:1], v[2:3], off offset:8 scope:SCOPE_SYS
.LBB3_623:
	s_or_b32 exec_lo, exec_lo, s6
	s_wait_loadcnt 0x0
	global_load_b64 v[2:3], v[0:1], off offset:16
	s_wait_loadcnt 0x0
	v_cmp_eq_u64_e32 vcc_lo, 0, v[2:3]
	s_cbranch_vccnz .LBB3_625
; %bb.624:
	global_load_b32 v0, v[0:1], off offset:24
	v_mov_b32_e32 v1, 0
	s_wait_loadcnt 0x0
	v_readfirstlane_b32 s6, v0
	global_wb scope:SCOPE_SYS
	s_wait_storecnt 0x0
	global_store_b64 v[2:3], v[0:1], off scope:SCOPE_SYS
	s_and_b32 m0, s6, 0xffffff
	s_sendmsg sendmsg(MSG_INTERRUPT)
.LBB3_625:
	s_wait_alu 0xfffe
	s_or_b32 exec_lo, exec_lo, s1
	s_branch .LBB3_629
.LBB3_626:                              ;   in Loop: Header=BB3_629 Depth=1
	s_wait_alu 0xfffe
	s_or_b32 exec_lo, exec_lo, s1
	s_delay_alu instid0(VALU_DEP_1)
	v_readfirstlane_b32 s1, v0
	s_cmp_eq_u32 s1, 0
	s_cbranch_scc1 .LBB3_628
; %bb.627:                              ;   in Loop: Header=BB3_629 Depth=1
	s_sleep 1
	s_cbranch_execnz .LBB3_629
	s_branch .LBB3_631
.LBB3_628:
	s_branch .LBB3_631
.LBB3_629:                              ; =>This Inner Loop Header: Depth=1
	v_mov_b32_e32 v0, 1
	s_and_saveexec_b32 s1, s0
	s_cbranch_execz .LBB3_626
; %bb.630:                              ;   in Loop: Header=BB3_629 Depth=1
	global_load_b32 v0, v[8:9], off offset:20 scope:SCOPE_SYS
	s_wait_loadcnt 0x0
	global_inv scope:SCOPE_SYS
	v_and_b32_e32 v0, 1, v0
	s_branch .LBB3_626
.LBB3_631:
	s_and_saveexec_b32 s6, s0
	s_cbranch_execz .LBB3_635
; %bb.632:
	v_mov_b32_e32 v6, 0
	s_clause 0x2
	global_load_b64 v[0:1], v6, s[2:3] offset:40
	global_load_b64 v[9:10], v6, s[2:3] offset:24 scope:SCOPE_SYS
	global_load_b64 v[2:3], v6, s[2:3]
	s_wait_loadcnt 0x2
	v_readfirstlane_b32 s10, v0
	v_readfirstlane_b32 s11, v1
	s_add_nc_u64 s[0:1], s[10:11], 1
	s_wait_alu 0xfffe
	s_add_nc_u64 s[4:5], s[0:1], s[4:5]
	s_wait_alu 0xfffe
	s_cmp_eq_u64 s[4:5], 0
	s_cselect_b32 s1, s1, s5
	s_cselect_b32 s0, s0, s4
	s_wait_alu 0xfffe
	v_mov_b32_e32 v8, s1
	s_and_b64 s[4:5], s[0:1], s[10:11]
	v_mov_b32_e32 v7, s0
	s_wait_alu 0xfffe
	s_mul_u64 s[4:5], s[4:5], 24
	s_wait_loadcnt 0x0
	s_wait_alu 0xfffe
	v_add_co_u32 v4, vcc_lo, v2, s4
	s_wait_alu 0xfffd
	v_add_co_ci_u32_e64 v5, null, s5, v3, vcc_lo
	global_store_b64 v[4:5], v[9:10], off
	global_wb scope:SCOPE_SYS
	s_wait_storecnt 0x0
	global_atomic_cmpswap_b64 v[2:3], v6, v[7:10], s[2:3] offset:24 th:TH_ATOMIC_RETURN scope:SCOPE_SYS
	s_wait_loadcnt 0x0
	v_cmp_ne_u64_e32 vcc_lo, v[2:3], v[9:10]
	s_and_b32 exec_lo, exec_lo, vcc_lo
	s_cbranch_execz .LBB3_635
; %bb.633:
	s_mov_b32 s4, 0
.LBB3_634:                              ; =>This Inner Loop Header: Depth=1
	v_dual_mov_b32 v0, s0 :: v_dual_mov_b32 v1, s1
	s_sleep 1
	global_store_b64 v[4:5], v[2:3], off
	global_wb scope:SCOPE_SYS
	s_wait_storecnt 0x0
	global_atomic_cmpswap_b64 v[0:1], v6, v[0:3], s[2:3] offset:24 th:TH_ATOMIC_RETURN scope:SCOPE_SYS
	s_wait_loadcnt 0x0
	v_cmp_eq_u64_e32 vcc_lo, v[0:1], v[2:3]
	v_dual_mov_b32 v3, v1 :: v_dual_mov_b32 v2, v0
	s_wait_alu 0xfffe
	s_or_b32 s4, vcc_lo, s4
	s_wait_alu 0xfffe
	s_and_not1_b32 exec_lo, exec_lo, s4
	s_cbranch_execnz .LBB3_634
.LBB3_635:
	s_wait_alu 0xfffe
	s_or_b32 exec_lo, exec_lo, s6
.LBB3_636:
	s_getpc_b64 s[0:1]
	s_wait_alu 0xfffe
	s_sext_i32_i16 s1, s1
	s_add_co_u32 s0, s0, .str.29@rel32@lo+12
	s_wait_alu 0xfffe
	s_add_co_ci_u32 s1, s1, .str.29@rel32@hi+24
	s_getpc_b64 s[2:3]
	s_wait_alu 0xfffe
	s_sext_i32_i16 s3, s3
	s_add_co_u32 s2, s2, .str.19@rel32@lo+12
	s_wait_alu 0xfffe
	s_add_co_ci_u32 s3, s3, .str.19@rel32@hi+24
	s_getpc_b64 s[4:5]
	s_wait_alu 0xfffe
	s_sext_i32_i16 s5, s5
	s_add_co_u32 s4, s4, __PRETTY_FUNCTION__._ZN7VecsMemIjLi8192EE5fetchEi@rel32@lo+12
	s_wait_alu 0xfffe
	s_add_co_ci_u32 s5, s5, __PRETTY_FUNCTION__._ZN7VecsMemIjLi8192EE5fetchEi@rel32@hi+24
	s_wait_loadcnt 0x0
	v_dual_mov_b32 v0, s0 :: v_dual_mov_b32 v1, s1
	v_dual_mov_b32 v2, s2 :: v_dual_mov_b32 v3, s3
	;; [unrolled: 1-line block ×3, first 2 shown]
	s_wait_alu 0xfffe
	v_mov_b32_e32 v6, s5
	s_getpc_b64 s[6:7]
	s_wait_alu 0xfffe
	s_sext_i32_i16 s7, s7
	s_add_co_u32 s6, s6, __assert_fail@rel32@lo+12
	s_wait_alu 0xfffe
	s_add_co_ci_u32 s7, s7, __assert_fail@rel32@hi+24
	s_mov_b64 s[18:19], s[8:9]
	s_wait_alu 0xfffe
	s_swappc_b64 s[30:31], s[6:7]
	s_mov_b64 s[8:9], s[18:19]
	s_or_b32 s0, s20, exec_lo
.LBB3_637:
	s_or_b32 exec_lo, exec_lo, s23
	s_delay_alu instid0(SALU_CYCLE_1)
	s_and_not1_b32 s1, s20, exec_lo
	s_wait_alu 0xfffe
	s_and_b32 s0, s0, exec_lo
	s_and_not1_b32 s2, s17, exec_lo
	s_and_b32 s3, s22, exec_lo
	s_wait_alu 0xfffe
	s_or_b32 s20, s1, s0
	s_or_b32 s17, s2, s3
.LBB3_638:
	s_wait_alu 0xfffe
	s_or_b32 exec_lo, exec_lo, s21
	s_delay_alu instid0(SALU_CYCLE_1)
	s_and_not1_b32 s0, s64, exec_lo
	s_and_b32 s1, s20, exec_lo
	s_and_b32 s2, s17, exec_lo
	s_wait_alu 0xfffe
	s_or_b32 s1, s0, s1
                                        ; implicit-def: $vgpr45_vgpr46
                                        ; implicit-def: $vgpr73
.LBB3_639:
	s_wait_alu 0xfffe
	s_and_not1_saveexec_b32 s3, s67
	s_cbranch_execz .LBB3_644
; %bb.640:
	v_mov_b32_e32 v0, 0
	s_mov_b32 s4, 0
	s_mov_b32 s5, exec_lo
	s_delay_alu instid0(VALU_DEP_1)
	v_dual_mov_b32 v1, v0 :: v_dual_mov_b32 v2, v0
	v_mov_b32_e32 v3, v0
	flat_store_b128 v[45:46], v[0:3]
	v_cmpx_lt_i32_e32 0, v73
	s_cbranch_execz .LBB3_643
; %bb.641:
	v_dual_mov_b32 v2, v0 :: v_dual_add_nc_u32 v1, -1, v73
	v_add_nc_u32_e32 v3, 1, v73
	s_delay_alu instid0(VALU_DEP_2) | instskip(NEXT) | instid1(VALU_DEP_1)
	v_lshlrev_b64_e32 v[1:2], 2, v[1:2]
	v_add_co_u32 v1, vcc_lo, v41, v1
	s_wait_alu 0xfffd
	s_delay_alu instid0(VALU_DEP_2)
	v_add_co_ci_u32_e64 v2, null, v42, v2, vcc_lo
.LBB3_642:                              ; =>This Inner Loop Header: Depth=1
	v_add_nc_u32_e32 v3, -1, v3
	flat_store_b32 v[1:2], v0
	v_add_co_u32 v1, s0, v1, -4
	s_wait_alu 0xf1ff
	v_add_co_ci_u32_e64 v2, null, -1, v2, s0
	v_cmp_gt_u32_e32 vcc_lo, 2, v3
	s_wait_alu 0xfffe
	s_or_b32 s4, vcc_lo, s4
	s_wait_alu 0xfffe
	s_and_not1_b32 exec_lo, exec_lo, s4
	s_cbranch_execnz .LBB3_642
.LBB3_643:
	s_wait_alu 0xfffe
	s_or_b32 exec_lo, exec_lo, s5
	s_delay_alu instid0(SALU_CYCLE_1)
	s_or_b32 s2, s2, exec_lo
.LBB3_644:
	s_wait_alu 0xfffe
	s_or_b32 exec_lo, exec_lo, s3
	s_and_saveexec_b32 s0, s2
	s_wait_alu 0xfffe
	s_xor_b32 s0, exec_lo, s0
	s_wait_alu 0xfffe
	s_or_b32 exec_lo, exec_lo, s0
	s_delay_alu instid0(SALU_CYCLE_1)
	s_and_not1_b32 s0, s64, exec_lo
	s_and_b32 s1, s1, exec_lo
	s_wait_alu 0xfffe
	s_or_b32 s17, s0, s1
.LBB3_645:
	s_wait_alu 0xfffe
	s_and_not1_saveexec_b32 s18, s66
	s_cbranch_execz .LBB3_647
; %bb.646:
	s_getpc_b64 s[0:1]
	s_wait_alu 0xfffe
	s_sext_i32_i16 s1, s1
	s_add_co_u32 s0, s0, .str.17@rel32@lo+12
	s_wait_alu 0xfffe
	s_add_co_ci_u32 s1, s1, .str.17@rel32@hi+24
	s_getpc_b64 s[2:3]
	s_wait_alu 0xfffe
	s_sext_i32_i16 s3, s3
	s_add_co_u32 s2, s2, .str.16@rel32@lo+12
	s_wait_alu 0xfffe
	s_add_co_ci_u32 s3, s3, .str.16@rel32@hi+24
	s_getpc_b64 s[4:5]
	s_wait_alu 0xfffe
	s_sext_i32_i16 s5, s5
	s_add_co_u32 s4, s4, __PRETTY_FUNCTION__._ZN3sop13minatoIsopRecEPKjS1_iPNS_3SopEP7VecsMemIjLi8192EE@rel32@lo+12
	s_wait_alu 0xfffe
	s_add_co_ci_u32 s5, s5, __PRETTY_FUNCTION__._ZN3sop13minatoIsopRecEPKjS1_iPNS_3SopEP7VecsMemIjLi8192EE@rel32@hi+24
	v_dual_mov_b32 v0, s0 :: v_dual_mov_b32 v1, s1
	v_dual_mov_b32 v2, s2 :: v_dual_mov_b32 v3, s3
	;; [unrolled: 1-line block ×3, first 2 shown]
	s_wait_alu 0xfffe
	v_mov_b32_e32 v6, s5
	s_getpc_b64 s[6:7]
	s_wait_alu 0xfffe
	s_sext_i32_i16 s7, s7
	s_add_co_u32 s6, s6, __assert_fail@rel32@lo+12
	s_wait_alu 0xfffe
	s_add_co_ci_u32 s7, s7, __assert_fail@rel32@hi+24
	s_wait_alu 0xfffe
	s_swappc_b64 s[30:31], s[6:7]
	s_or_b32 s17, s17, exec_lo
.LBB3_647:
	s_wait_alu 0xfffe
	s_or_b32 exec_lo, exec_lo, s18
	s_delay_alu instid0(SALU_CYCLE_1)
	s_and_not1_b32 s0, s64, exec_lo
	s_and_b32 s1, s17, exec_lo
	s_wait_alu 0xfffe
	s_or_b32 s64, s0, s1
	s_or_b32 exec_lo, exec_lo, s65
	s_wait_alu 0xfffe
	s_and_saveexec_b32 s0, s64
	s_cbranch_execnz .LBB3_3
	s_branch .LBB3_4
.Lfunc_end3:
	.size	_ZN3sop13minatoIsopRecEPKjS1_iPNS_3SopEP7VecsMemIjLi8192EE, .Lfunc_end3-_ZN3sop13minatoIsopRecEPKjS1_iPNS_3SopEP7VecsMemIjLi8192EE
                                        ; -- End function
	.set .L_ZN3sop13minatoIsopRecEPKjS1_iPNS_3SopEP7VecsMemIjLi8192EE.num_vgpr, max(80, .L__assert_fail.num_vgpr, .L_ZN3sop14minatoIsop5RecEjjiPNS_3SopEP7VecsMemIjLi8192EE.num_vgpr)
	.set .L_ZN3sop13minatoIsopRecEPKjS1_iPNS_3SopEP7VecsMemIjLi8192EE.num_agpr, max(0, .L__assert_fail.num_agpr, .L_ZN3sop14minatoIsop5RecEjjiPNS_3SopEP7VecsMemIjLi8192EE.num_agpr)
	.set .L_ZN3sop13minatoIsopRecEPKjS1_iPNS_3SopEP7VecsMemIjLi8192EE.numbered_sgpr, max(83, .L__assert_fail.numbered_sgpr, .L_ZN3sop14minatoIsop5RecEjjiPNS_3SopEP7VecsMemIjLi8192EE.numbered_sgpr)
	.set .L_ZN3sop13minatoIsopRecEPKjS1_iPNS_3SopEP7VecsMemIjLi8192EE.num_named_barrier, max(0, .L__assert_fail.num_named_barrier, .L_ZN3sop14minatoIsop5RecEjjiPNS_3SopEP7VecsMemIjLi8192EE.num_named_barrier)
	.set .L_ZN3sop13minatoIsopRecEPKjS1_iPNS_3SopEP7VecsMemIjLi8192EE.private_seg_size, 160+max(.L__assert_fail.private_seg_size, .L_ZN3sop14minatoIsop5RecEjjiPNS_3SopEP7VecsMemIjLi8192EE.private_seg_size)
	.set .L_ZN3sop13minatoIsopRecEPKjS1_iPNS_3SopEP7VecsMemIjLi8192EE.uses_vcc, or(1, .L__assert_fail.uses_vcc, .L_ZN3sop14minatoIsop5RecEjjiPNS_3SopEP7VecsMemIjLi8192EE.uses_vcc)
	.set .L_ZN3sop13minatoIsopRecEPKjS1_iPNS_3SopEP7VecsMemIjLi8192EE.uses_flat_scratch, or(1, .L__assert_fail.uses_flat_scratch, .L_ZN3sop14minatoIsop5RecEjjiPNS_3SopEP7VecsMemIjLi8192EE.uses_flat_scratch)
	.set .L_ZN3sop13minatoIsopRecEPKjS1_iPNS_3SopEP7VecsMemIjLi8192EE.has_dyn_sized_stack, or(0, .L__assert_fail.has_dyn_sized_stack, .L_ZN3sop14minatoIsop5RecEjjiPNS_3SopEP7VecsMemIjLi8192EE.has_dyn_sized_stack)
	.set .L_ZN3sop13minatoIsopRecEPKjS1_iPNS_3SopEP7VecsMemIjLi8192EE.has_recursion, or(1, .L__assert_fail.has_recursion, .L_ZN3sop14minatoIsop5RecEjjiPNS_3SopEP7VecsMemIjLi8192EE.has_recursion)
	.set .L_ZN3sop13minatoIsopRecEPKjS1_iPNS_3SopEP7VecsMemIjLi8192EE.has_indirect_call, or(0, .L__assert_fail.has_indirect_call, .L_ZN3sop14minatoIsop5RecEjjiPNS_3SopEP7VecsMemIjLi8192EE.has_indirect_call)
	.section	.AMDGPU.csdata,"",@progbits
; Function info:
; codeLenInByte = 30636
; TotalNumSgprs: 85
; NumVgprs: 80
; ScratchSize: 336
; MemoryBound: 0
	.text
	.p2align	2                               ; -- Begin function _ZN3sop23sopFactorTrivialCubeRecEjiiPN8subgUtil4SubgILi256EEE
	.type	_ZN3sop23sopFactorTrivialCubeRecEjiiPN8subgUtil4SubgILi256EEE,@function
_ZN3sop23sopFactorTrivialCubeRecEjiiPN8subgUtil4SubgILi256EEE: ; @_ZN3sop23sopFactorTrivialCubeRecEjiiPN8subgUtil4SubgILi256EEE
; %bb.0:
	s_wait_loadcnt_dscnt 0x0
	s_wait_expcnt 0x0
	s_wait_samplecnt 0x0
	s_wait_bvhcnt 0x0
	s_wait_kmcnt 0x0
	s_mov_b32 s0, s33
	s_mov_b32 s33, s32
	s_or_saveexec_b32 s1, -1
	scratch_store_b32 off, v46, s33 offset:24 ; 4-byte Folded Spill
	s_wait_alu 0xfffe
	s_mov_b32 exec_lo, s1
	v_writelane_b32 v46, s0, 11
	s_add_co_i32 s32, s32, 32
	s_clause 0x5
	scratch_store_b32 off, v40, s33 offset:20
	; meta instruction
	scratch_store_b32 off, v41, s33 offset:16
	; meta instruction
	;; [unrolled: 2-line block ×5, first 2 shown]
	scratch_store_b32 off, v45, s33
	v_writelane_b32 v46, s34, 0
	v_writelane_b32 v46, s35, 1
	;; [unrolled: 1-line block ×11, first 2 shown]
	v_dual_mov_b32 v41, v4 :: v_dual_mov_b32 v40, v3
	s_mov_b32 s17, 0
                                        ; implicit-def: $vgpr54
	s_mov_b32 s0, exec_lo
	v_cmpx_ne_u32_e32 0, v0
	s_wait_alu 0xfffe
	s_xor_b32 s38, exec_lo, s0
	s_cbranch_execnz .LBB4_5
; %bb.1:
	s_wait_alu 0xfffe
	s_and_not1_saveexec_b32 s18, s38
	s_cbranch_execnz .LBB4_34
.LBB4_2:
	s_wait_alu 0xfffe
	s_or_b32 exec_lo, exec_lo, s18
	s_and_saveexec_b32 s0, s17
.LBB4_3:
	; divergent unreachable
.LBB4_4:
	s_wait_alu 0xfffe
	s_or_b32 exec_lo, exec_lo, s0
	s_clause 0x5
	scratch_load_b32 v45, off, s33
	scratch_load_b32 v44, off, s33 offset:4
	scratch_load_b32 v43, off, s33 offset:8
	;; [unrolled: 1-line block ×5, first 2 shown]
	v_readlane_b32 s30, v46, 9
	v_mov_b32_e32 v0, v54
	v_readlane_b32 s31, v46, 10
	v_readlane_b32 s51, v46, 8
	;; [unrolled: 1-line block ×10, first 2 shown]
	s_mov_b32 s32, s33
	v_readlane_b32 s0, v46, 11
	s_or_saveexec_b32 s1, -1
	scratch_load_b32 v46, off, s33 offset:24 ; 4-byte Folded Reload
	s_wait_alu 0xfffe
	s_mov_b32 exec_lo, s1
	s_mov_b32 s33, s0
	s_wait_loadcnt_dscnt 0x0
	s_wait_alu 0xfffe
	s_setpc_b64 s[30:31]
.LBB4_5:
	v_cmp_lt_i32_e32 vcc_lo, v1, v2
	v_dual_mov_b32 v54, -1 :: v_dual_mov_b32 v3, 0
	s_and_saveexec_b32 s1, vcc_lo
	s_cbranch_execz .LBB4_9
; %bb.6:
	v_dual_mov_b32 v54, -1 :: v_dual_mov_b32 v3, 0
	v_mov_b32_e32 v4, v1
	s_mov_b32 s2, 0
.LBB4_7:                                ; =>This Inner Loop Header: Depth=1
	s_delay_alu instid0(VALU_DEP_1) | instskip(SKIP_1) | instid1(VALU_DEP_2)
	v_lshrrev_b32_e32 v5, v4, v0
	v_bfe_u32 v6, v0, v4, 1
	v_and_b32_e32 v5, 1, v5
	s_delay_alu instid0(VALU_DEP_2) | instskip(NEXT) | instid1(VALU_DEP_2)
	v_add_nc_u32_e32 v3, v3, v6
	v_cmp_eq_u32_e64 s0, 1, v5
	s_wait_alu 0xf1ff
	s_delay_alu instid0(VALU_DEP_1) | instskip(SKIP_1) | instid1(VALU_DEP_1)
	v_cndmask_b32_e64 v54, v54, v4, s0
	v_add_nc_u32_e32 v4, 1, v4
	v_cmp_ge_i32_e64 s0, v4, v2
	s_wait_alu 0xfffe
	s_or_b32 s2, s0, s2
	s_wait_alu 0xfffe
	s_and_not1_b32 exec_lo, exec_lo, s2
	s_cbranch_execnz .LBB4_7
; %bb.8:
	s_or_b32 exec_lo, exec_lo, s2
.LBB4_9:
	s_wait_alu 0xfffe
	s_or_b32 exec_lo, exec_lo, s1
	s_mov_b32 s17, 0
	s_mov_b32 s1, exec_lo
	v_cmpx_ne_u32_e32 -1, v54
	s_wait_alu 0xfffe
	s_xor_b32 s39, exec_lo, s1
	s_cbranch_execz .LBB4_31
; %bb.10:
	s_mov_b32 s1, 0
	s_mov_b32 s48, exec_lo
	v_cmpx_ne_u32_e32 1, v3
	s_cbranch_execz .LBB4_30
; %bb.11:
	v_mov_b32_e32 v43, v1
	s_and_saveexec_b32 s0, vcc_lo
	s_cbranch_execz .LBB4_21
; %bb.12:
	v_lshrrev_b32_e32 v3, 1, v3
	v_dual_mov_b32 v4, 0 :: v_dual_mov_b32 v5, v1
	s_branch .LBB4_14
.LBB4_13:                               ;   in Loop: Header=BB4_14 Depth=1
	s_wait_alu 0xfffe
	s_or_b32 exec_lo, exec_lo, s3
	v_mov_b32_e32 v43, v5
	v_mov_b32_e32 v5, v6
	s_and_b32 s2, exec_lo, s2
	s_wait_alu 0xfffe
	s_or_b32 s1, s2, s1
	s_wait_alu 0xfffe
	s_and_not1_b32 exec_lo, exec_lo, s1
	s_cbranch_execz .LBB4_20
.LBB4_14:                               ; =>This Inner Loop Header: Depth=1
	s_delay_alu instid0(VALU_DEP_1) | instskip(SKIP_3) | instid1(VALU_DEP_1)
	v_lshrrev_b32_e32 v6, v5, v0
	s_mov_b32 s2, -1
	s_mov_b32 s4, -1
	s_mov_b32 s3, exec_lo
	v_and_b32_e32 v6, 1, v6
	s_delay_alu instid0(VALU_DEP_1)
	v_cmpx_eq_u32_e32 1, v6
	s_cbranch_execz .LBB4_18
; %bb.15:                               ;   in Loop: Header=BB4_14 Depth=1
	s_mov_b32 s4, 0
	s_mov_b32 s5, exec_lo
	v_cmpx_ne_u32_e64 v4, v3
; %bb.16:                               ;   in Loop: Header=BB4_14 Depth=1
	v_add_nc_u32_e32 v4, 1, v4
	s_mov_b32 s4, exec_lo
; %bb.17:                               ;   in Loop: Header=BB4_14 Depth=1
	s_wait_alu 0xfffe
	s_or_b32 exec_lo, exec_lo, s5
	s_delay_alu instid0(SALU_CYCLE_1)
	s_or_not1_b32 s4, s4, exec_lo
.LBB4_18:                               ;   in Loop: Header=BB4_14 Depth=1
	s_wait_alu 0xfffe
	s_or_b32 exec_lo, exec_lo, s3
                                        ; implicit-def: $vgpr6
	s_and_saveexec_b32 s3, s4
	s_cbranch_execz .LBB4_13
; %bb.19:                               ;   in Loop: Header=BB4_14 Depth=1
	v_dual_mov_b32 v5, v2 :: v_dual_add_nc_u32 v6, 1, v5
	s_delay_alu instid0(VALU_DEP_1)
	v_cmp_ge_i32_e32 vcc_lo, v6, v2
	s_or_not1_b32 s2, vcc_lo, exec_lo
	s_branch .LBB4_13
.LBB4_20:
	s_or_b32 exec_lo, exec_lo, s1
.LBB4_21:
	s_wait_alu 0xfffe
	s_or_b32 exec_lo, exec_lo, s0
	v_dual_mov_b32 v44, v2 :: v_dual_mov_b32 v45, v0
	v_dual_mov_b32 v2, v43 :: v_dual_mov_b32 v3, v40
	v_mov_b32_e32 v4, v41
	s_getpc_b64 s[50:51]
	s_wait_alu 0xfffe
	s_sext_i32_i16 s51, s51
	s_add_co_u32 s50, s50, _ZN3sop23sopFactorTrivialCubeRecEjiiPN8subgUtil4SubgILi256EEE@rel32@lo+12
	s_wait_alu 0xfffe
	s_add_co_ci_u32 s51, s51, _ZN3sop23sopFactorTrivialCubeRecEjiiPN8subgUtil4SubgILi256EEE@rel32@hi+24
	s_mov_b64 s[36:37], s[8:9]
	s_wait_alu 0xfffe
	s_swappc_b64 s[30:31], s[50:51]
	v_dual_mov_b32 v42, v0 :: v_dual_mov_b32 v1, v43
	v_dual_mov_b32 v0, v45 :: v_dual_mov_b32 v3, v40
	v_mov_b32_e32 v2, v44
	v_mov_b32_e32 v4, v41
	s_mov_b64 s[8:9], s[36:37]
	s_mov_b64 s[34:35], s[36:37]
	s_wait_alu 0xfffe
	s_swappc_b64 s[30:31], s[50:51]
	flat_load_b32 v1, v[40:41]
	s_mov_b32 s17, 0
	s_mov_b32 s0, exec_lo
	s_wait_loadcnt_dscnt 0x0
	v_cmpx_lt_i32_e32 0xff, v1
	s_wait_alu 0xfffe
	s_xor_b32 s18, exec_lo, s0
	s_cbranch_execz .LBB4_23
; %bb.22:
	s_getpc_b64 s[0:1]
	s_wait_alu 0xfffe
	s_sext_i32_i16 s1, s1
	s_add_co_u32 s0, s0, .str.43@rel32@lo+12
	s_wait_alu 0xfffe
	s_add_co_ci_u32 s1, s1, .str.43@rel32@hi+24
	s_getpc_b64 s[2:3]
	s_wait_alu 0xfffe
	s_sext_i32_i16 s3, s3
	s_add_co_u32 s2, s2, .str.44@rel32@lo+12
	s_wait_alu 0xfffe
	s_add_co_ci_u32 s3, s3, .str.44@rel32@hi+24
	s_getpc_b64 s[4:5]
	s_wait_alu 0xfffe
	s_sext_i32_i16 s5, s5
	s_add_co_u32 s4, s4, __PRETTY_FUNCTION__._ZN8subgUtil4SubgILi256EE10addNodeAndEii@rel32@lo+12
	s_wait_alu 0xfffe
	s_add_co_ci_u32 s5, s5, __PRETTY_FUNCTION__._ZN8subgUtil4SubgILi256EE10addNodeAndEii@rel32@hi+24
	v_dual_mov_b32 v0, s0 :: v_dual_mov_b32 v1, s1
	v_dual_mov_b32 v2, s2 :: v_dual_mov_b32 v3, s3
	v_dual_mov_b32 v4, 60 :: v_dual_mov_b32 v5, s4
	s_wait_alu 0xfffe
	v_mov_b32_e32 v6, s5
	s_getpc_b64 s[6:7]
	s_wait_alu 0xfffe
	s_sext_i32_i16 s7, s7
	s_add_co_u32 s6, s6, __assert_fail@rel32@lo+12
	s_wait_alu 0xfffe
	s_add_co_ci_u32 s7, s7, __assert_fail@rel32@hi+24
	s_mov_b64 s[8:9], s[34:35]
	s_wait_alu 0xfffe
	s_swappc_b64 s[30:31], s[6:7]
	s_mov_b32 s17, exec_lo
                                        ; implicit-def: $vgpr0
                                        ; implicit-def: $vgpr42
                                        ; implicit-def: $vgpr1
                                        ; implicit-def: $vgpr40_vgpr41
.LBB4_23:
	s_wait_alu 0xfffe
	s_or_saveexec_b32 s18, s18
	s_mov_b64 s[8:9], s[34:35]
                                        ; implicit-def: $vgpr54
	s_wait_alu 0xfffe
	s_xor_b32 exec_lo, exec_lo, s18
	s_cbranch_execz .LBB4_29
; %bb.24:
	v_or_b32_e32 v2, v0, v42
	s_mov_b32 s0, exec_lo
                                        ; implicit-def: $vgpr54
	s_delay_alu instid0(VALU_DEP_1)
	v_cmpx_lt_i32_e32 -1, v2
	s_wait_alu 0xfffe
	s_xor_b32 s0, exec_lo, s0
	s_cbranch_execz .LBB4_26
; %bb.25:
	v_ashrrev_i32_e32 v2, 31, v1
	v_max_i32_e32 v4, v42, v0
	v_min_i32_e32 v5, v42, v0
	v_add_nc_u32_e32 v0, 1, v1
	v_lshlrev_b32_e32 v54, 1, v1
	v_lshlrev_b64_e32 v[2:3], 3, v[1:2]
	v_lshlrev_b32_e32 v4, 1, v4
	s_delay_alu instid0(VALU_DEP_2) | instskip(SKIP_1) | instid1(VALU_DEP_3)
	v_add_co_u32 v2, vcc_lo, v40, v2
	s_wait_alu 0xfffd
	v_add_co_ci_u32_e64 v3, null, v41, v3, vcc_lo
	s_clause 0x1
	flat_store_b32 v[40:41], v0
	flat_store_b64 v[2:3], v[4:5] offset:8
.LBB4_26:
	s_wait_alu 0xfffe
	s_or_saveexec_b32 s19, s0
	s_mov_b32 s0, s17
	s_wait_alu 0xfffe
	s_xor_b32 exec_lo, exec_lo, s19
	s_cbranch_execz .LBB4_28
; %bb.27:
	s_getpc_b64 s[0:1]
	s_wait_alu 0xfffe
	s_sext_i32_i16 s1, s1
	s_add_co_u32 s0, s0, .str.46@rel32@lo+12
	s_wait_alu 0xfffe
	s_add_co_ci_u32 s1, s1, .str.46@rel32@hi+24
	s_getpc_b64 s[2:3]
	s_wait_alu 0xfffe
	s_sext_i32_i16 s3, s3
	s_add_co_u32 s2, s2, .str.44@rel32@lo+12
	s_wait_alu 0xfffe
	s_add_co_ci_u32 s3, s3, .str.44@rel32@hi+24
	s_getpc_b64 s[4:5]
	s_wait_alu 0xfffe
	s_sext_i32_i16 s5, s5
	s_add_co_u32 s4, s4, __PRETTY_FUNCTION__._ZN8subgUtil18formAndNodeKeyFlagEiii@rel32@lo+12
	s_wait_alu 0xfffe
	s_add_co_ci_u32 s5, s5, __PRETTY_FUNCTION__._ZN8subgUtil18formAndNodeKeyFlagEiii@rel32@hi+24
	v_dual_mov_b32 v0, s0 :: v_dual_mov_b32 v1, s1
	v_dual_mov_b32 v2, s2 :: v_dual_mov_b32 v3, s3
	;; [unrolled: 1-line block ×3, first 2 shown]
	s_wait_alu 0xfffe
	v_mov_b32_e32 v6, s5
	s_getpc_b64 s[6:7]
	s_wait_alu 0xfffe
	s_sext_i32_i16 s7, s7
	s_add_co_u32 s6, s6, __assert_fail@rel32@lo+12
	s_wait_alu 0xfffe
	s_add_co_ci_u32 s7, s7, __assert_fail@rel32@hi+24
	s_mov_b64 s[8:9], s[34:35]
	s_wait_alu 0xfffe
	s_swappc_b64 s[30:31], s[6:7]
	s_mov_b64 s[8:9], s[34:35]
	s_or_b32 s0, s17, exec_lo
.LBB4_28:
	s_or_b32 exec_lo, exec_lo, s19
	s_delay_alu instid0(SALU_CYCLE_1)
	s_and_not1_b32 s1, s17, exec_lo
	s_wait_alu 0xfffe
	s_and_b32 s0, s0, exec_lo
	s_wait_alu 0xfffe
	s_or_b32 s17, s1, s0
.LBB4_29:
	s_or_b32 exec_lo, exec_lo, s18
	s_wait_alu 0xfffe
	s_and_b32 s1, s17, exec_lo
.LBB4_30:
	s_wait_alu 0xfffe
	s_or_b32 exec_lo, exec_lo, s48
	s_delay_alu instid0(SALU_CYCLE_1)
	s_and_b32 s17, s1, exec_lo
.LBB4_31:
	s_wait_alu 0xfffe
	s_and_not1_saveexec_b32 s20, s39
	s_cbranch_execz .LBB4_33
; %bb.32:
	s_getpc_b64 s[0:1]
	s_wait_alu 0xfffe
	s_sext_i32_i16 s1, s1
	s_add_co_u32 s0, s0, .str.37@rel32@lo+12
	s_wait_alu 0xfffe
	s_add_co_ci_u32 s1, s1, .str.37@rel32@hi+24
	s_getpc_b64 s[2:3]
	s_wait_alu 0xfffe
	s_sext_i32_i16 s3, s3
	s_add_co_u32 s2, s2, .str.31@rel32@lo+12
	s_wait_alu 0xfffe
	s_add_co_ci_u32 s3, s3, .str.31@rel32@hi+24
	s_getpc_b64 s[4:5]
	s_wait_alu 0xfffe
	s_sext_i32_i16 s5, s5
	s_add_co_u32 s4, s4, __PRETTY_FUNCTION__._ZN3sop23sopFactorTrivialCubeRecEjiiPN8subgUtil4SubgILi256EEE@rel32@lo+12
	s_wait_alu 0xfffe
	s_add_co_ci_u32 s5, s5, __PRETTY_FUNCTION__._ZN3sop23sopFactorTrivialCubeRecEjiiPN8subgUtil4SubgILi256EEE@rel32@hi+24
	v_dual_mov_b32 v0, s0 :: v_dual_mov_b32 v1, s1
	v_dual_mov_b32 v2, s2 :: v_dual_mov_b32 v3, s3
	;; [unrolled: 1-line block ×3, first 2 shown]
	s_wait_alu 0xfffe
	v_mov_b32_e32 v6, s5
	s_getpc_b64 s[6:7]
	s_wait_alu 0xfffe
	s_sext_i32_i16 s7, s7
	s_add_co_u32 s6, s6, __assert_fail@rel32@lo+12
	s_wait_alu 0xfffe
	s_add_co_ci_u32 s7, s7, __assert_fail@rel32@hi+24
	s_mov_b64 s[18:19], s[8:9]
	s_wait_alu 0xfffe
	s_swappc_b64 s[30:31], s[6:7]
	s_mov_b64 s[8:9], s[18:19]
	s_or_b32 s17, s17, exec_lo
.LBB4_33:
	s_wait_alu 0xfffe
	s_or_b32 exec_lo, exec_lo, s20
	s_delay_alu instid0(SALU_CYCLE_1)
	s_and_b32 s17, s17, exec_lo
	s_and_not1_saveexec_b32 s18, s38
	s_cbranch_execz .LBB4_2
.LBB4_34:
	s_getpc_b64 s[0:1]
	s_wait_alu 0xfffe
	s_sext_i32_i16 s1, s1
	s_add_co_u32 s0, s0, .str.36@rel32@lo+12
	s_wait_alu 0xfffe
	s_add_co_ci_u32 s1, s1, .str.36@rel32@hi+24
	s_getpc_b64 s[2:3]
	s_wait_alu 0xfffe
	s_sext_i32_i16 s3, s3
	s_add_co_u32 s2, s2, .str.31@rel32@lo+12
	s_wait_alu 0xfffe
	s_add_co_ci_u32 s3, s3, .str.31@rel32@hi+24
	s_getpc_b64 s[4:5]
	s_wait_alu 0xfffe
	s_sext_i32_i16 s5, s5
	s_add_co_u32 s4, s4, __PRETTY_FUNCTION__._ZN3sop23sopFactorTrivialCubeRecEjiiPN8subgUtil4SubgILi256EEE@rel32@lo+12
	s_wait_alu 0xfffe
	s_add_co_ci_u32 s5, s5, __PRETTY_FUNCTION__._ZN3sop23sopFactorTrivialCubeRecEjiiPN8subgUtil4SubgILi256EEE@rel32@hi+24
	v_dual_mov_b32 v0, s0 :: v_dual_mov_b32 v1, s1
	v_dual_mov_b32 v2, s2 :: v_dual_mov_b32 v3, s3
	;; [unrolled: 1-line block ×3, first 2 shown]
	s_wait_alu 0xfffe
	v_mov_b32_e32 v6, s5
	s_getpc_b64 s[6:7]
	s_wait_alu 0xfffe
	s_sext_i32_i16 s7, s7
	s_add_co_u32 s6, s6, __assert_fail@rel32@lo+12
	s_wait_alu 0xfffe
	s_add_co_ci_u32 s7, s7, __assert_fail@rel32@hi+24
	s_wait_alu 0xfffe
	s_swappc_b64 s[30:31], s[6:7]
	s_or_b32 s17, s17, exec_lo
	s_or_b32 exec_lo, exec_lo, s18
	s_wait_alu 0xfffe
	s_and_saveexec_b32 s0, s17
	s_cbranch_execnz .LBB4_3
	s_branch .LBB4_4
.Lfunc_end4:
	.size	_ZN3sop23sopFactorTrivialCubeRecEjiiPN8subgUtil4SubgILi256EEE, .Lfunc_end4-_ZN3sop23sopFactorTrivialCubeRecEjiiPN8subgUtil4SubgILi256EEE
                                        ; -- End function
	.set .L_ZN3sop23sopFactorTrivialCubeRecEjiiPN8subgUtil4SubgILi256EEE.num_vgpr, max(55, .L__assert_fail.num_vgpr)
	.set .L_ZN3sop23sopFactorTrivialCubeRecEjiiPN8subgUtil4SubgILi256EEE.num_agpr, max(0, .L__assert_fail.num_agpr)
	.set .L_ZN3sop23sopFactorTrivialCubeRecEjiiPN8subgUtil4SubgILi256EEE.numbered_sgpr, max(52, .L__assert_fail.numbered_sgpr)
	.set .L_ZN3sop23sopFactorTrivialCubeRecEjiiPN8subgUtil4SubgILi256EEE.num_named_barrier, max(0, .L__assert_fail.num_named_barrier)
	.set .L_ZN3sop23sopFactorTrivialCubeRecEjiiPN8subgUtil4SubgILi256EEE.private_seg_size, 32+max(.L__assert_fail.private_seg_size)
	.set .L_ZN3sop23sopFactorTrivialCubeRecEjiiPN8subgUtil4SubgILi256EEE.uses_vcc, or(1, .L__assert_fail.uses_vcc)
	.set .L_ZN3sop23sopFactorTrivialCubeRecEjiiPN8subgUtil4SubgILi256EEE.uses_flat_scratch, or(1, .L__assert_fail.uses_flat_scratch)
	.set .L_ZN3sop23sopFactorTrivialCubeRecEjiiPN8subgUtil4SubgILi256EEE.has_dyn_sized_stack, or(0, .L__assert_fail.has_dyn_sized_stack)
	.set .L_ZN3sop23sopFactorTrivialCubeRecEjiiPN8subgUtil4SubgILi256EEE.has_recursion, or(1, .L__assert_fail.has_recursion)
	.set .L_ZN3sop23sopFactorTrivialCubeRecEjiiPN8subgUtil4SubgILi256EEE.has_indirect_call, or(0, .L__assert_fail.has_indirect_call)
	.section	.AMDGPU.csdata,"",@progbits
; Function info:
; codeLenInByte = 2012
; TotalNumSgprs: 54
; NumVgprs: 55
; ScratchSize: 96
; MemoryBound: 0
	.text
	.p2align	2                               ; -- Begin function _ZN3sop19sopFactorTrivialRecEPjiiPN8subgUtil4SubgILi256EEE
	.type	_ZN3sop19sopFactorTrivialRecEPjiiPN8subgUtil4SubgILi256EEE,@function
_ZN3sop19sopFactorTrivialRecEPjiiPN8subgUtil4SubgILi256EEE: ; @_ZN3sop19sopFactorTrivialRecEPjiiPN8subgUtil4SubgILi256EEE
; %bb.0:
	s_wait_loadcnt_dscnt 0x0
	s_wait_expcnt 0x0
	s_wait_samplecnt 0x0
	s_wait_bvhcnt 0x0
	s_wait_kmcnt 0x0
	s_mov_b32 s0, s33
	s_mov_b32 s33, s32
	s_or_saveexec_b32 s1, -1
	scratch_store_b32 off, v57, s33 offset:36 ; 4-byte Folded Spill
	s_wait_alu 0xfffe
	s_mov_b32 exec_lo, s1
	v_writelane_b32 v57, s0, 12
	s_add_co_i32 s32, s32, 48
	s_clause 0x8
	scratch_store_b32 off, v40, s33 offset:32
	; meta instruction
	scratch_store_b32 off, v41, s33 offset:28
	; meta instruction
	;; [unrolled: 2-line block ×8, first 2 shown]
	scratch_store_b32 off, v56, s33
	v_writelane_b32 v57, s34, 0
	v_writelane_b32 v57, s35, 1
	;; [unrolled: 1-line block ×12, first 2 shown]
	v_dual_mov_b32 v41, v5 :: v_dual_mov_b32 v40, v4
	v_dual_mov_b32 v43, v1 :: v_dual_mov_b32 v42, v0
	s_mov_b64 s[34:35], s[8:9]
                                        ; implicit-def: $vgpr54
	s_mov_b32 s0, exec_lo
	v_cmpx_ne_u32_e32 1, v2
	s_wait_alu 0xfffe
	s_xor_b32 s36, exec_lo, s0
	s_cbranch_execz .LBB5_6
; %bb.1:
	v_lshrrev_b32_e32 v0, 31, v2
	v_mov_b32_e32 v4, v40
	s_getpc_b64 s[38:39]
	s_wait_alu 0xfffe
	s_sext_i32_i16 s39, s39
	s_add_co_u32 s38, s38, _ZN3sop19sopFactorTrivialRecEPjiiPN8subgUtil4SubgILi256EEE@rel32@lo+12
	s_wait_alu 0xfffe
	s_add_co_ci_u32 s39, s39, _ZN3sop19sopFactorTrivialRecEPjiiPN8subgUtil4SubgILi256EEE@rel32@hi+24
	s_mov_b64 s[8:9], s[34:35]
	v_mov_b32_e32 v56, v3
	v_dual_mov_b32 v1, v43 :: v_dual_add_nc_u32 v0, v2, v0
	v_mov_b32_e32 v5, v41
	s_delay_alu instid0(VALU_DEP_2) | instskip(SKIP_1) | instid1(VALU_DEP_2)
	v_ashrrev_i32_e32 v45, 1, v0
	v_mov_b32_e32 v0, v42
	v_sub_nc_u32_e32 v47, v2, v45
	v_mov_b32_e32 v2, v45
	s_wait_alu 0xfffe
	s_swappc_b64 s[30:31], s[38:39]
	v_ashrrev_i32_e32 v46, 31, v45
	v_dual_mov_b32 v44, v0 :: v_dual_mov_b32 v3, v56
	v_dual_mov_b32 v2, v47 :: v_dual_mov_b32 v5, v41
	s_delay_alu instid0(VALU_DEP_3) | instskip(SKIP_2) | instid1(VALU_DEP_2)
	v_lshlrev_b64_e32 v[0:1], 2, v[45:46]
	v_mov_b32_e32 v4, v40
	s_mov_b64 s[8:9], s[34:35]
	v_add_co_u32 v0, vcc_lo, v42, v0
	s_wait_alu 0xfffd
	s_delay_alu instid0(VALU_DEP_3)
	v_add_co_ci_u32_e64 v1, null, v43, v1, vcc_lo
	s_wait_alu 0xfffe
	s_swappc_b64 s[30:31], s[38:39]
	flat_load_b32 v1, v[40:41]
	s_mov_b32 s17, 0
	s_mov_b32 s0, exec_lo
	s_wait_loadcnt_dscnt 0x0
	v_cmpx_lt_i32_e32 0xff, v1
	s_wait_alu 0xfffe
	s_xor_b32 s18, exec_lo, s0
	s_cbranch_execnz .LBB5_9
; %bb.2:
	s_wait_alu 0xfffe
	s_or_saveexec_b32 s18, s18
                                        ; implicit-def: $vgpr54
	s_wait_alu 0xfffe
	s_xor_b32 exec_lo, exec_lo, s18
	s_cbranch_execnz .LBB5_10
.LBB5_3:
	s_or_b32 exec_lo, exec_lo, s18
	s_and_saveexec_b32 s0, s17
.LBB5_4:
	; divergent unreachable
.LBB5_5:
	s_wait_alu 0xfffe
	s_or_b32 exec_lo, exec_lo, s0
                                        ; implicit-def: $vgpr42_vgpr43
                                        ; implicit-def: $vgpr40
                                        ; implicit-def: $vgpr3
.LBB5_6:
	s_wait_alu 0xfffe
	s_and_not1_saveexec_b32 s49, s36
	s_cbranch_execz .LBB5_8
; %bb.7:
	flat_load_b32 v0, v[42:43]
	v_dual_mov_b32 v1, 0 :: v_dual_mov_b32 v2, v3
	v_dual_mov_b32 v3, v40 :: v_dual_mov_b32 v4, v41
	s_getpc_b64 s[0:1]
	s_wait_alu 0xfffe
	s_sext_i32_i16 s1, s1
	s_add_co_u32 s0, s0, _ZN3sop23sopFactorTrivialCubeRecEjiiPN8subgUtil4SubgILi256EEE@rel32@lo+12
	s_wait_alu 0xfffe
	s_add_co_ci_u32 s1, s1, _ZN3sop23sopFactorTrivialCubeRecEjiiPN8subgUtil4SubgILi256EEE@rel32@hi+24
	s_mov_b64 s[8:9], s[34:35]
	s_wait_alu 0xfffe
	s_swappc_b64 s[30:31], s[0:1]
	v_mov_b32_e32 v54, v0
.LBB5_8:
	s_wait_alu 0xfffe
	s_or_b32 exec_lo, exec_lo, s49
	s_clause 0x8
	scratch_load_b32 v56, off, s33
	scratch_load_b32 v47, off, s33 offset:4
	scratch_load_b32 v46, off, s33 offset:8
	;; [unrolled: 1-line block ×8, first 2 shown]
	v_readlane_b32 s30, v57, 10
	v_mov_b32_e32 v0, v54
	v_readlane_b32 s31, v57, 11
	v_readlane_b32 s51, v57, 9
	;; [unrolled: 1-line block ×11, first 2 shown]
	s_mov_b32 s32, s33
	v_readlane_b32 s0, v57, 12
	s_or_saveexec_b32 s1, -1
	scratch_load_b32 v57, off, s33 offset:36 ; 4-byte Folded Reload
	s_wait_alu 0xfffe
	s_mov_b32 exec_lo, s1
	s_mov_b32 s33, s0
	s_wait_loadcnt_dscnt 0x0
	s_wait_kmcnt 0x0
	s_wait_alu 0xfffe
	s_setpc_b64 s[30:31]
.LBB5_9:
	s_getpc_b64 s[0:1]
	s_wait_alu 0xfffe
	s_sext_i32_i16 s1, s1
	s_add_co_u32 s0, s0, .str.43@rel32@lo+12
	s_wait_alu 0xfffe
	s_add_co_ci_u32 s1, s1, .str.43@rel32@hi+24
	s_getpc_b64 s[2:3]
	s_wait_alu 0xfffe
	s_sext_i32_i16 s3, s3
	s_add_co_u32 s2, s2, .str.44@rel32@lo+12
	s_wait_alu 0xfffe
	s_add_co_ci_u32 s3, s3, .str.44@rel32@hi+24
	s_getpc_b64 s[4:5]
	s_wait_alu 0xfffe
	s_sext_i32_i16 s5, s5
	s_add_co_u32 s4, s4, __PRETTY_FUNCTION__._ZN8subgUtil4SubgILi256EE9addNodeOrEii@rel32@lo+12
	s_wait_alu 0xfffe
	s_add_co_ci_u32 s5, s5, __PRETTY_FUNCTION__._ZN8subgUtil4SubgILi256EE9addNodeOrEii@rel32@hi+24
	v_dual_mov_b32 v0, s0 :: v_dual_mov_b32 v1, s1
	v_dual_mov_b32 v2, s2 :: v_dual_mov_b32 v3, s3
	;; [unrolled: 1-line block ×3, first 2 shown]
	s_wait_alu 0xfffe
	v_mov_b32_e32 v6, s5
	s_getpc_b64 s[6:7]
	s_wait_alu 0xfffe
	s_sext_i32_i16 s7, s7
	s_add_co_u32 s6, s6, __assert_fail@rel32@lo+12
	s_wait_alu 0xfffe
	s_add_co_ci_u32 s7, s7, __assert_fail@rel32@hi+24
	s_mov_b64 s[8:9], s[34:35]
	s_wait_alu 0xfffe
	s_swappc_b64 s[30:31], s[6:7]
	s_mov_b32 s17, exec_lo
                                        ; implicit-def: $vgpr0
                                        ; implicit-def: $vgpr44
                                        ; implicit-def: $vgpr40_vgpr41
	s_or_saveexec_b32 s18, s18
                                        ; implicit-def: $vgpr54
	s_wait_alu 0xfffe
	s_xor_b32 exec_lo, exec_lo, s18
	s_cbranch_execz .LBB5_3
.LBB5_10:
	v_min_i32_e32 v36, v44, v0
	v_max_i32_e32 v3, v44, v0
	s_delay_alu instid0(VALU_DEP_2) | instskip(NEXT) | instid1(VALU_DEP_2)
	v_xor_b32_e32 v30, 1, v36
	v_xor_b32_e32 v33, 1, v3
	s_delay_alu instid0(VALU_DEP_1)
	v_cmp_gt_i32_e64 s0, v30, v33
	s_and_saveexec_b32 s16, s0
	s_cbranch_execz .LBB5_192
; %bb.11:
	s_load_b64 s[2:3], s[34:35], 0x50
	v_mbcnt_lo_u32_b32 v35, -1, 0
	v_mov_b32_e32 v1, 0
	v_mov_b32_e32 v2, 0
	s_delay_alu instid0(VALU_DEP_3) | instskip(SKIP_1) | instid1(VALU_DEP_1)
	v_readfirstlane_b32 s1, v35
	s_wait_alu 0xf1ff
	v_cmp_eq_u32_e64 s1, s1, v35
	s_and_saveexec_b32 s4, s1
	s_cbranch_execz .LBB5_17
; %bb.12:
	v_mov_b32_e32 v4, 0
	s_mov_b32 s5, exec_lo
	s_wait_kmcnt 0x0
	global_load_b64 v[7:8], v4, s[2:3] offset:24 scope:SCOPE_SYS
	s_wait_loadcnt 0x0
	global_inv scope:SCOPE_SYS
	s_clause 0x1
	global_load_b64 v[1:2], v4, s[2:3] offset:40
	global_load_b64 v[5:6], v4, s[2:3]
	s_wait_loadcnt 0x1
	v_and_b32_e32 v2, v2, v8
	v_and_b32_e32 v1, v1, v7
	s_delay_alu instid0(VALU_DEP_2) | instskip(NEXT) | instid1(VALU_DEP_2)
	v_mul_lo_u32 v2, 24, v2
	v_mul_lo_u32 v9, 0, v1
	v_mul_hi_u32 v10, 24, v1
	v_mul_lo_u32 v1, 24, v1
	s_delay_alu instid0(VALU_DEP_3) | instskip(SKIP_1) | instid1(VALU_DEP_2)
	v_add_nc_u32_e32 v2, v2, v9
	s_wait_loadcnt 0x0
	v_add_co_u32 v1, vcc_lo, v5, v1
	s_delay_alu instid0(VALU_DEP_2) | instskip(SKIP_1) | instid1(VALU_DEP_1)
	v_add_nc_u32_e32 v2, v2, v10
	s_wait_alu 0xfffd
	v_add_co_ci_u32_e64 v2, null, v6, v2, vcc_lo
	global_load_b64 v[5:6], v[1:2], off scope:SCOPE_SYS
	s_wait_loadcnt 0x0
	global_atomic_cmpswap_b64 v[1:2], v4, v[5:8], s[2:3] offset:24 th:TH_ATOMIC_RETURN scope:SCOPE_SYS
	s_wait_loadcnt 0x0
	global_inv scope:SCOPE_SYS
	v_cmpx_ne_u64_e64 v[1:2], v[7:8]
	s_cbranch_execz .LBB5_16
; %bb.13:
	s_mov_b32 s6, 0
.LBB5_14:                               ; =>This Inner Loop Header: Depth=1
	s_sleep 1
	s_clause 0x1
	global_load_b64 v[5:6], v4, s[2:3] offset:40
	global_load_b64 v[9:10], v4, s[2:3]
	v_dual_mov_b32 v8, v2 :: v_dual_mov_b32 v7, v1
	s_wait_loadcnt 0x1
	s_delay_alu instid0(VALU_DEP_1) | instskip(NEXT) | instid1(VALU_DEP_2)
	v_and_b32_e32 v1, v5, v7
	v_and_b32_e32 v5, v6, v8
	s_wait_loadcnt 0x0
	s_delay_alu instid0(VALU_DEP_2) | instskip(NEXT) | instid1(VALU_DEP_1)
	v_mad_co_u64_u32 v[1:2], null, v1, 24, v[9:10]
	v_mad_co_u64_u32 v[5:6], null, v5, 24, v[2:3]
	s_delay_alu instid0(VALU_DEP_1)
	v_mov_b32_e32 v2, v5
	global_load_b64 v[5:6], v[1:2], off scope:SCOPE_SYS
	s_wait_loadcnt 0x0
	global_atomic_cmpswap_b64 v[1:2], v4, v[5:8], s[2:3] offset:24 th:TH_ATOMIC_RETURN scope:SCOPE_SYS
	s_wait_loadcnt 0x0
	global_inv scope:SCOPE_SYS
	v_cmp_eq_u64_e32 vcc_lo, v[1:2], v[7:8]
	s_wait_alu 0xfffe
	s_or_b32 s6, vcc_lo, s6
	s_wait_alu 0xfffe
	s_and_not1_b32 exec_lo, exec_lo, s6
	s_cbranch_execnz .LBB5_14
; %bb.15:
	s_or_b32 exec_lo, exec_lo, s6
.LBB5_16:
	s_wait_alu 0xfffe
	s_or_b32 exec_lo, exec_lo, s5
.LBB5_17:
	s_wait_alu 0xfffe
	s_or_b32 exec_lo, exec_lo, s4
	v_readfirstlane_b32 s4, v1
	v_mov_b32_e32 v9, 0
	v_readfirstlane_b32 s5, v2
	s_mov_b32 s6, exec_lo
	s_wait_kmcnt 0x0
	s_clause 0x1
	global_load_b64 v[10:11], v9, s[2:3] offset:40
	global_load_b128 v[4:7], v9, s[2:3]
	s_wait_loadcnt 0x1
	s_wait_alu 0xf1ff
	v_and_b32_e32 v13, s5, v11
	v_and_b32_e32 v12, s4, v10
	s_delay_alu instid0(VALU_DEP_2) | instskip(NEXT) | instid1(VALU_DEP_2)
	v_mul_lo_u32 v1, 24, v13
	v_mul_lo_u32 v2, 0, v12
	v_mul_hi_u32 v8, 24, v12
	v_mul_lo_u32 v10, 24, v12
	s_delay_alu instid0(VALU_DEP_3) | instskip(NEXT) | instid1(VALU_DEP_1)
	v_add_nc_u32_e32 v1, v1, v2
	v_add_nc_u32_e32 v2, v1, v8
	s_wait_loadcnt 0x0
	s_delay_alu instid0(VALU_DEP_3) | instskip(SKIP_1) | instid1(VALU_DEP_2)
	v_add_co_u32 v1, vcc_lo, v4, v10
	s_wait_alu 0xfffd
	v_add_co_ci_u32_e64 v2, null, v5, v2, vcc_lo
	s_and_saveexec_b32 s7, s1
	s_cbranch_execz .LBB5_19
; %bb.18:
	s_wait_alu 0xfffe
	v_dual_mov_b32 v8, s6 :: v_dual_mov_b32 v11, 1
	v_mov_b32_e32 v10, 2
	global_store_b128 v[1:2], v[8:11], off offset:8
.LBB5_19:
	s_wait_alu 0xfffe
	s_or_b32 exec_lo, exec_lo, s7
	v_lshlrev_b64_e32 v[11:12], 12, v[12:13]
	v_lshlrev_b32_e32 v34, 6, v35
	s_mov_b32 s8, 0
	s_wait_alu 0xfffe
	s_mov_b32 s11, s8
	s_mov_b32 s9, s8
	v_add_co_u32 v6, vcc_lo, v6, v11
	s_wait_alu 0xfffd
	v_add_co_ci_u32_e64 v7, null, v7, v12, vcc_lo
	v_mov_b32_e32 v11, v9
	s_delay_alu instid0(VALU_DEP_3)
	v_add_co_u32 v12, vcc_lo, v6, v34
	s_mov_b32 s10, s8
	s_wait_alu 0xfffe
	v_dual_mov_b32 v8, 33 :: v_dual_mov_b32 v17, s11
	v_dual_mov_b32 v10, v9 :: v_dual_mov_b32 v15, s9
	v_readfirstlane_b32 s6, v6
	v_readfirstlane_b32 s7, v7
	s_wait_alu 0xfffd
	v_add_co_ci_u32_e64 v13, null, 0, v7, vcc_lo
	v_mov_b32_e32 v16, s10
	v_mov_b32_e32 v14, s8
	s_clause 0x3
	global_store_b128 v34, v[8:11], s[6:7]
	global_store_b128 v34, v[14:17], s[6:7] offset:16
	global_store_b128 v34, v[14:17], s[6:7] offset:32
	;; [unrolled: 1-line block ×3, first 2 shown]
	s_and_saveexec_b32 s6, s1
	s_cbranch_execz .LBB5_26
; %bb.20:
	v_mov_b32_e32 v10, 0
	s_mov_b32 s7, exec_lo
	s_clause 0x1
	global_load_b64 v[16:17], v10, s[2:3] offset:32 scope:SCOPE_SYS
	global_load_b64 v[6:7], v10, s[2:3] offset:40
	v_dual_mov_b32 v15, s5 :: v_dual_mov_b32 v14, s4
	s_wait_loadcnt 0x0
	v_and_b32_e32 v7, s5, v7
	v_and_b32_e32 v6, s4, v6
	s_delay_alu instid0(VALU_DEP_2) | instskip(NEXT) | instid1(VALU_DEP_2)
	v_mul_lo_u32 v7, 24, v7
	v_mul_lo_u32 v8, 0, v6
	v_mul_hi_u32 v9, 24, v6
	v_mul_lo_u32 v6, 24, v6
	s_delay_alu instid0(VALU_DEP_3) | instskip(NEXT) | instid1(VALU_DEP_2)
	v_add_nc_u32_e32 v7, v7, v8
	v_add_co_u32 v8, vcc_lo, v4, v6
	s_delay_alu instid0(VALU_DEP_2) | instskip(SKIP_1) | instid1(VALU_DEP_1)
	v_add_nc_u32_e32 v7, v7, v9
	s_wait_alu 0xfffd
	v_add_co_ci_u32_e64 v9, null, v5, v7, vcc_lo
	global_store_b64 v[8:9], v[16:17], off
	global_wb scope:SCOPE_SYS
	s_wait_storecnt 0x0
	global_atomic_cmpswap_b64 v[6:7], v10, v[14:17], s[2:3] offset:32 th:TH_ATOMIC_RETURN scope:SCOPE_SYS
	s_wait_loadcnt 0x0
	v_cmpx_ne_u64_e64 v[6:7], v[16:17]
	s_cbranch_execz .LBB5_22
.LBB5_21:                               ; =>This Inner Loop Header: Depth=1
	v_dual_mov_b32 v4, s4 :: v_dual_mov_b32 v5, s5
	s_sleep 1
	global_store_b64 v[8:9], v[6:7], off
	global_wb scope:SCOPE_SYS
	s_wait_storecnt 0x0
	global_atomic_cmpswap_b64 v[4:5], v10, v[4:7], s[2:3] offset:32 th:TH_ATOMIC_RETURN scope:SCOPE_SYS
	s_wait_loadcnt 0x0
	v_cmp_eq_u64_e32 vcc_lo, v[4:5], v[6:7]
	v_dual_mov_b32 v7, v5 :: v_dual_mov_b32 v6, v4
	s_or_b32 s8, vcc_lo, s8
	s_wait_alu 0xfffe
	s_and_not1_b32 exec_lo, exec_lo, s8
	s_cbranch_execnz .LBB5_21
.LBB5_22:
	s_wait_alu 0xfffe
	s_or_b32 exec_lo, exec_lo, s7
	v_mov_b32_e32 v7, 0
	s_mov_b32 s8, exec_lo
	s_mov_b32 s7, exec_lo
	s_wait_alu 0xfffe
	v_mbcnt_lo_u32_b32 v6, s8, 0
	global_load_b64 v[4:5], v7, s[2:3] offset:16
	v_cmpx_eq_u32_e32 0, v6
	s_cbranch_execz .LBB5_24
; %bb.23:
	s_bcnt1_i32_b32 s8, s8
	s_wait_alu 0xfffe
	v_mov_b32_e32 v6, s8
	global_wb scope:SCOPE_SYS
	s_wait_loadcnt 0x0
	s_wait_storecnt 0x0
	global_atomic_add_u64 v[4:5], v[6:7], off offset:8 scope:SCOPE_SYS
.LBB5_24:
	s_or_b32 exec_lo, exec_lo, s7
	s_wait_loadcnt 0x0
	global_load_b64 v[6:7], v[4:5], off offset:16
	s_wait_loadcnt 0x0
	v_cmp_eq_u64_e32 vcc_lo, 0, v[6:7]
	s_cbranch_vccnz .LBB5_26
; %bb.25:
	global_load_b32 v4, v[4:5], off offset:24
	v_mov_b32_e32 v5, 0
	s_wait_loadcnt 0x0
	v_readfirstlane_b32 s7, v4
	global_wb scope:SCOPE_SYS
	s_wait_storecnt 0x0
	global_store_b64 v[6:7], v[4:5], off scope:SCOPE_SYS
	s_and_b32 m0, s7, 0xffffff
	s_sendmsg sendmsg(MSG_INTERRUPT)
.LBB5_26:
	s_wait_alu 0xfffe
	s_or_b32 exec_lo, exec_lo, s6
	s_branch .LBB5_30
.LBB5_27:                               ;   in Loop: Header=BB5_30 Depth=1
	s_wait_alu 0xfffe
	s_or_b32 exec_lo, exec_lo, s6
	s_delay_alu instid0(VALU_DEP_1)
	v_readfirstlane_b32 s6, v4
	s_cmp_eq_u32 s6, 0
	s_cbranch_scc1 .LBB5_29
; %bb.28:                               ;   in Loop: Header=BB5_30 Depth=1
	s_sleep 1
	s_cbranch_execnz .LBB5_30
	s_branch .LBB5_32
.LBB5_29:
	s_branch .LBB5_32
.LBB5_30:                               ; =>This Inner Loop Header: Depth=1
	v_mov_b32_e32 v4, 1
	s_and_saveexec_b32 s6, s1
	s_cbranch_execz .LBB5_27
; %bb.31:                               ;   in Loop: Header=BB5_30 Depth=1
	global_load_b32 v4, v[1:2], off offset:20 scope:SCOPE_SYS
	s_wait_loadcnt 0x0
	global_inv scope:SCOPE_SYS
	v_and_b32_e32 v4, 1, v4
	s_branch .LBB5_27
.LBB5_32:
	global_load_b64 v[4:5], v[12:13], off
	s_and_saveexec_b32 s6, s1
	s_cbranch_execz .LBB5_36
; %bb.33:
	v_mov_b32_e32 v10, 0
	s_clause 0x2
	global_load_b64 v[1:2], v10, s[2:3] offset:40
	global_load_b64 v[13:14], v10, s[2:3] offset:24 scope:SCOPE_SYS
	global_load_b64 v[6:7], v10, s[2:3]
	s_wait_loadcnt 0x2
	v_readfirstlane_b32 s8, v1
	v_readfirstlane_b32 s9, v2
	s_add_nc_u64 s[10:11], s[8:9], 1
	s_wait_alu 0xfffe
	s_add_nc_u64 s[4:5], s[10:11], s[4:5]
	s_wait_alu 0xfffe
	s_cmp_eq_u64 s[4:5], 0
	s_cselect_b32 s5, s11, s5
	s_cselect_b32 s4, s10, s4
	s_wait_alu 0xfffe
	v_mov_b32_e32 v12, s5
	s_and_b64 s[8:9], s[4:5], s[8:9]
	v_mov_b32_e32 v11, s4
	s_wait_alu 0xfffe
	s_mul_u64 s[8:9], s[8:9], 24
	s_wait_loadcnt 0x0
	s_wait_alu 0xfffe
	v_add_co_u32 v1, vcc_lo, v6, s8
	s_wait_alu 0xfffd
	v_add_co_ci_u32_e64 v2, null, s9, v7, vcc_lo
	global_store_b64 v[1:2], v[13:14], off
	global_wb scope:SCOPE_SYS
	s_wait_storecnt 0x0
	global_atomic_cmpswap_b64 v[8:9], v10, v[11:14], s[2:3] offset:24 th:TH_ATOMIC_RETURN scope:SCOPE_SYS
	s_wait_loadcnt 0x0
	v_cmp_ne_u64_e32 vcc_lo, v[8:9], v[13:14]
	s_and_b32 exec_lo, exec_lo, vcc_lo
	s_cbranch_execz .LBB5_36
; %bb.34:
	s_mov_b32 s1, 0
.LBB5_35:                               ; =>This Inner Loop Header: Depth=1
	v_dual_mov_b32 v6, s4 :: v_dual_mov_b32 v7, s5
	s_sleep 1
	global_store_b64 v[1:2], v[8:9], off
	global_wb scope:SCOPE_SYS
	s_wait_storecnt 0x0
	global_atomic_cmpswap_b64 v[6:7], v10, v[6:9], s[2:3] offset:24 th:TH_ATOMIC_RETURN scope:SCOPE_SYS
	s_wait_loadcnt 0x0
	v_cmp_eq_u64_e32 vcc_lo, v[6:7], v[8:9]
	v_dual_mov_b32 v9, v7 :: v_dual_mov_b32 v8, v6
	s_wait_alu 0xfffe
	s_or_b32 s1, vcc_lo, s1
	s_wait_alu 0xfffe
	s_and_not1_b32 exec_lo, exec_lo, s1
	s_cbranch_execnz .LBB5_35
.LBB5_36:
	s_wait_alu 0xfffe
	s_or_b32 exec_lo, exec_lo, s6
	s_getpc_b64 s[4:5]
	s_wait_alu 0xfffe
	s_sext_i32_i16 s5, s5
	s_add_co_u32 s4, s4, .str.45@rel32@lo+12
	s_wait_alu 0xfffe
	s_add_co_ci_u32 s5, s5, .str.45@rel32@hi+24
	s_wait_alu 0xfffe
	s_cmp_lg_u64 s[4:5], 0
	s_cbranch_scc0 .LBB5_115
; %bb.37:
	s_wait_loadcnt 0x0
	v_dual_mov_b32 v12, 2 :: v_dual_and_b32 v37, 2, v4
	v_dual_mov_b32 v11, 0 :: v_dual_and_b32 v6, -3, v4
	v_mov_b32_e32 v7, v5
	v_mov_b32_e32 v13, 1
	s_mov_b64 s[6:7], 7
	s_branch .LBB5_39
.LBB5_38:                               ;   in Loop: Header=BB5_39 Depth=1
	s_wait_alu 0xfffe
	s_or_b32 exec_lo, exec_lo, s12
	s_sub_nc_u64 s[6:7], s[6:7], s[8:9]
	s_add_nc_u64 s[4:5], s[4:5], s[8:9]
	s_wait_alu 0xfffe
	s_cmp_lg_u64 s[6:7], 0
	s_cbranch_scc0 .LBB5_114
.LBB5_39:                               ; =>This Loop Header: Depth=1
                                        ;     Child Loop BB5_42 Depth 2
                                        ;     Child Loop BB5_49 Depth 2
	;; [unrolled: 1-line block ×11, first 2 shown]
	s_wait_alu 0xfffe
	v_cmp_lt_u64_e64 s1, s[6:7], 56
	v_cmp_gt_u64_e64 s10, s[6:7], 7
	s_and_b32 s1, s1, exec_lo
	s_cselect_b32 s9, s7, 0
	s_cselect_b32 s8, s6, 56
	s_and_b32 vcc_lo, exec_lo, s10
	s_wait_alu 0xfffe
	s_cbranch_vccnz .LBB5_44
; %bb.40:                               ;   in Loop: Header=BB5_39 Depth=1
	v_mov_b32_e32 v8, 0
	v_mov_b32_e32 v9, 0
	s_cmp_eq_u64 s[6:7], 0
	s_cbranch_scc1 .LBB5_43
; %bb.41:                               ;   in Loop: Header=BB5_39 Depth=1
	s_mov_b64 s[10:11], 0
	s_mov_b64 s[12:13], 0
.LBB5_42:                               ;   Parent Loop BB5_39 Depth=1
                                        ; =>  This Inner Loop Header: Depth=2
	s_wait_alu 0xfffe
	s_add_nc_u64 s[14:15], s[4:5], s[12:13]
	s_add_nc_u64 s[12:13], s[12:13], 1
	global_load_u8 v1, v11, s[14:15]
	s_wait_alu 0xfffe
	s_cmp_lg_u32 s8, s12
	s_wait_loadcnt 0x0
	v_and_b32_e32 v10, 0xffff, v1
	s_delay_alu instid0(VALU_DEP_1) | instskip(SKIP_1) | instid1(VALU_DEP_1)
	v_lshlrev_b64_e32 v[1:2], s10, v[10:11]
	s_add_nc_u64 s[10:11], s[10:11], 8
	v_or_b32_e32 v8, v1, v8
	s_delay_alu instid0(VALU_DEP_2)
	v_or_b32_e32 v9, v2, v9
	s_cbranch_scc1 .LBB5_42
.LBB5_43:                               ;   in Loop: Header=BB5_39 Depth=1
	s_mov_b64 s[12:13], s[4:5]
	s_mov_b32 s1, 0
	s_cbranch_execz .LBB5_45
	s_branch .LBB5_46
.LBB5_44:                               ;   in Loop: Header=BB5_39 Depth=1
	s_add_nc_u64 s[12:13], s[4:5], 8
	s_mov_b32 s1, 0
.LBB5_45:                               ;   in Loop: Header=BB5_39 Depth=1
	global_load_b64 v[8:9], v11, s[4:5]
	s_add_co_i32 s1, s8, -8
.LBB5_46:                               ;   in Loop: Header=BB5_39 Depth=1
	s_wait_alu 0xfffe
	s_cmp_gt_u32 s1, 7
	s_cbranch_scc1 .LBB5_51
; %bb.47:                               ;   in Loop: Header=BB5_39 Depth=1
	v_mov_b32_e32 v14, 0
	v_mov_b32_e32 v15, 0
	s_cmp_eq_u32 s1, 0
	s_cbranch_scc1 .LBB5_50
; %bb.48:                               ;   in Loop: Header=BB5_39 Depth=1
	s_mov_b64 s[10:11], 0
	s_mov_b64 s[14:15], 0
.LBB5_49:                               ;   Parent Loop BB5_39 Depth=1
                                        ; =>  This Inner Loop Header: Depth=2
	s_wait_alu 0xfffe
	s_add_nc_u64 s[20:21], s[12:13], s[14:15]
	s_add_nc_u64 s[14:15], s[14:15], 1
	global_load_u8 v1, v11, s[20:21]
	s_wait_alu 0xfffe
	s_cmp_lg_u32 s1, s14
	s_wait_loadcnt 0x0
	v_and_b32_e32 v10, 0xffff, v1
	s_delay_alu instid0(VALU_DEP_1) | instskip(SKIP_1) | instid1(VALU_DEP_1)
	v_lshlrev_b64_e32 v[1:2], s10, v[10:11]
	s_add_nc_u64 s[10:11], s[10:11], 8
	v_or_b32_e32 v14, v1, v14
	s_delay_alu instid0(VALU_DEP_2)
	v_or_b32_e32 v15, v2, v15
	s_cbranch_scc1 .LBB5_49
.LBB5_50:                               ;   in Loop: Header=BB5_39 Depth=1
	s_mov_b64 s[10:11], s[12:13]
	s_mov_b32 s19, 0
	s_cbranch_execz .LBB5_52
	s_branch .LBB5_53
.LBB5_51:                               ;   in Loop: Header=BB5_39 Depth=1
	s_add_nc_u64 s[10:11], s[12:13], 8
                                        ; implicit-def: $vgpr14_vgpr15
	s_mov_b32 s19, 0
.LBB5_52:                               ;   in Loop: Header=BB5_39 Depth=1
	global_load_b64 v[14:15], v11, s[12:13]
	s_add_co_i32 s19, s1, -8
.LBB5_53:                               ;   in Loop: Header=BB5_39 Depth=1
	s_wait_alu 0xfffe
	s_cmp_gt_u32 s19, 7
	s_cbranch_scc1 .LBB5_58
; %bb.54:                               ;   in Loop: Header=BB5_39 Depth=1
	v_mov_b32_e32 v16, 0
	v_mov_b32_e32 v17, 0
	s_cmp_eq_u32 s19, 0
	s_cbranch_scc1 .LBB5_57
; %bb.55:                               ;   in Loop: Header=BB5_39 Depth=1
	s_mov_b64 s[12:13], 0
	s_mov_b64 s[14:15], 0
.LBB5_56:                               ;   Parent Loop BB5_39 Depth=1
                                        ; =>  This Inner Loop Header: Depth=2
	s_wait_alu 0xfffe
	s_add_nc_u64 s[20:21], s[10:11], s[14:15]
	s_add_nc_u64 s[14:15], s[14:15], 1
	global_load_u8 v1, v11, s[20:21]
	s_wait_alu 0xfffe
	s_cmp_lg_u32 s19, s14
	s_wait_loadcnt 0x0
	v_and_b32_e32 v10, 0xffff, v1
	s_delay_alu instid0(VALU_DEP_1) | instskip(SKIP_1) | instid1(VALU_DEP_1)
	v_lshlrev_b64_e32 v[1:2], s12, v[10:11]
	s_add_nc_u64 s[12:13], s[12:13], 8
	v_or_b32_e32 v16, v1, v16
	s_delay_alu instid0(VALU_DEP_2)
	v_or_b32_e32 v17, v2, v17
	s_cbranch_scc1 .LBB5_56
.LBB5_57:                               ;   in Loop: Header=BB5_39 Depth=1
	s_mov_b64 s[12:13], s[10:11]
	s_mov_b32 s1, 0
	s_cbranch_execz .LBB5_59
	s_branch .LBB5_60
.LBB5_58:                               ;   in Loop: Header=BB5_39 Depth=1
	s_add_nc_u64 s[12:13], s[10:11], 8
	s_mov_b32 s1, 0
.LBB5_59:                               ;   in Loop: Header=BB5_39 Depth=1
	global_load_b64 v[16:17], v11, s[10:11]
	s_add_co_i32 s1, s19, -8
.LBB5_60:                               ;   in Loop: Header=BB5_39 Depth=1
	s_wait_alu 0xfffe
	s_cmp_gt_u32 s1, 7
	s_cbranch_scc1 .LBB5_65
; %bb.61:                               ;   in Loop: Header=BB5_39 Depth=1
	v_mov_b32_e32 v18, 0
	v_mov_b32_e32 v19, 0
	s_cmp_eq_u32 s1, 0
	s_cbranch_scc1 .LBB5_64
; %bb.62:                               ;   in Loop: Header=BB5_39 Depth=1
	s_mov_b64 s[10:11], 0
	s_mov_b64 s[14:15], 0
.LBB5_63:                               ;   Parent Loop BB5_39 Depth=1
                                        ; =>  This Inner Loop Header: Depth=2
	s_wait_alu 0xfffe
	s_add_nc_u64 s[20:21], s[12:13], s[14:15]
	s_add_nc_u64 s[14:15], s[14:15], 1
	global_load_u8 v1, v11, s[20:21]
	s_wait_alu 0xfffe
	s_cmp_lg_u32 s1, s14
	s_wait_loadcnt 0x0
	v_and_b32_e32 v10, 0xffff, v1
	s_delay_alu instid0(VALU_DEP_1) | instskip(SKIP_1) | instid1(VALU_DEP_1)
	v_lshlrev_b64_e32 v[1:2], s10, v[10:11]
	s_add_nc_u64 s[10:11], s[10:11], 8
	v_or_b32_e32 v18, v1, v18
	s_delay_alu instid0(VALU_DEP_2)
	v_or_b32_e32 v19, v2, v19
	s_cbranch_scc1 .LBB5_63
.LBB5_64:                               ;   in Loop: Header=BB5_39 Depth=1
	s_mov_b64 s[10:11], s[12:13]
	s_mov_b32 s19, 0
	s_cbranch_execz .LBB5_66
	s_branch .LBB5_67
.LBB5_65:                               ;   in Loop: Header=BB5_39 Depth=1
	s_add_nc_u64 s[10:11], s[12:13], 8
                                        ; implicit-def: $vgpr18_vgpr19
	s_mov_b32 s19, 0
.LBB5_66:                               ;   in Loop: Header=BB5_39 Depth=1
	global_load_b64 v[18:19], v11, s[12:13]
	s_add_co_i32 s19, s1, -8
.LBB5_67:                               ;   in Loop: Header=BB5_39 Depth=1
	s_wait_alu 0xfffe
	s_cmp_gt_u32 s19, 7
	s_cbranch_scc1 .LBB5_72
; %bb.68:                               ;   in Loop: Header=BB5_39 Depth=1
	v_mov_b32_e32 v20, 0
	v_mov_b32_e32 v21, 0
	s_cmp_eq_u32 s19, 0
	s_cbranch_scc1 .LBB5_71
; %bb.69:                               ;   in Loop: Header=BB5_39 Depth=1
	s_mov_b64 s[12:13], 0
	s_mov_b64 s[14:15], 0
.LBB5_70:                               ;   Parent Loop BB5_39 Depth=1
                                        ; =>  This Inner Loop Header: Depth=2
	s_wait_alu 0xfffe
	s_add_nc_u64 s[20:21], s[10:11], s[14:15]
	s_add_nc_u64 s[14:15], s[14:15], 1
	global_load_u8 v1, v11, s[20:21]
	s_wait_alu 0xfffe
	s_cmp_lg_u32 s19, s14
	s_wait_loadcnt 0x0
	v_and_b32_e32 v10, 0xffff, v1
	s_delay_alu instid0(VALU_DEP_1) | instskip(SKIP_1) | instid1(VALU_DEP_1)
	v_lshlrev_b64_e32 v[1:2], s12, v[10:11]
	s_add_nc_u64 s[12:13], s[12:13], 8
	v_or_b32_e32 v20, v1, v20
	s_delay_alu instid0(VALU_DEP_2)
	v_or_b32_e32 v21, v2, v21
	s_cbranch_scc1 .LBB5_70
.LBB5_71:                               ;   in Loop: Header=BB5_39 Depth=1
	s_mov_b64 s[12:13], s[10:11]
	s_mov_b32 s1, 0
	s_cbranch_execz .LBB5_73
	s_branch .LBB5_74
.LBB5_72:                               ;   in Loop: Header=BB5_39 Depth=1
	s_add_nc_u64 s[12:13], s[10:11], 8
	s_mov_b32 s1, 0
.LBB5_73:                               ;   in Loop: Header=BB5_39 Depth=1
	global_load_b64 v[20:21], v11, s[10:11]
	s_add_co_i32 s1, s19, -8
.LBB5_74:                               ;   in Loop: Header=BB5_39 Depth=1
	s_wait_alu 0xfffe
	s_cmp_gt_u32 s1, 7
	s_cbranch_scc1 .LBB5_79
; %bb.75:                               ;   in Loop: Header=BB5_39 Depth=1
	v_mov_b32_e32 v22, 0
	v_mov_b32_e32 v23, 0
	s_cmp_eq_u32 s1, 0
	s_cbranch_scc1 .LBB5_78
; %bb.76:                               ;   in Loop: Header=BB5_39 Depth=1
	s_mov_b64 s[10:11], 0
	s_mov_b64 s[14:15], 0
.LBB5_77:                               ;   Parent Loop BB5_39 Depth=1
                                        ; =>  This Inner Loop Header: Depth=2
	s_wait_alu 0xfffe
	s_add_nc_u64 s[20:21], s[12:13], s[14:15]
	s_add_nc_u64 s[14:15], s[14:15], 1
	global_load_u8 v1, v11, s[20:21]
	s_wait_alu 0xfffe
	s_cmp_lg_u32 s1, s14
	s_wait_loadcnt 0x0
	v_and_b32_e32 v10, 0xffff, v1
	s_delay_alu instid0(VALU_DEP_1) | instskip(SKIP_1) | instid1(VALU_DEP_1)
	v_lshlrev_b64_e32 v[1:2], s10, v[10:11]
	s_add_nc_u64 s[10:11], s[10:11], 8
	v_or_b32_e32 v22, v1, v22
	s_delay_alu instid0(VALU_DEP_2)
	v_or_b32_e32 v23, v2, v23
	s_cbranch_scc1 .LBB5_77
.LBB5_78:                               ;   in Loop: Header=BB5_39 Depth=1
	s_mov_b64 s[10:11], s[12:13]
	s_mov_b32 s19, 0
	s_cbranch_execz .LBB5_80
	s_branch .LBB5_81
.LBB5_79:                               ;   in Loop: Header=BB5_39 Depth=1
	s_add_nc_u64 s[10:11], s[12:13], 8
                                        ; implicit-def: $vgpr22_vgpr23
	s_mov_b32 s19, 0
.LBB5_80:                               ;   in Loop: Header=BB5_39 Depth=1
	global_load_b64 v[22:23], v11, s[12:13]
	s_add_co_i32 s19, s1, -8
.LBB5_81:                               ;   in Loop: Header=BB5_39 Depth=1
	s_wait_alu 0xfffe
	s_cmp_gt_u32 s19, 7
	s_cbranch_scc1 .LBB5_86
; %bb.82:                               ;   in Loop: Header=BB5_39 Depth=1
	v_mov_b32_e32 v24, 0
	v_mov_b32_e32 v25, 0
	s_cmp_eq_u32 s19, 0
	s_cbranch_scc1 .LBB5_85
; %bb.83:                               ;   in Loop: Header=BB5_39 Depth=1
	s_mov_b64 s[12:13], 0
	s_mov_b64 s[14:15], s[10:11]
.LBB5_84:                               ;   Parent Loop BB5_39 Depth=1
                                        ; =>  This Inner Loop Header: Depth=2
	global_load_u8 v1, v11, s[14:15]
	s_add_co_i32 s19, s19, -1
	s_wait_alu 0xfffe
	s_add_nc_u64 s[14:15], s[14:15], 1
	s_cmp_lg_u32 s19, 0
	s_wait_loadcnt 0x0
	v_and_b32_e32 v10, 0xffff, v1
	s_delay_alu instid0(VALU_DEP_1) | instskip(SKIP_1) | instid1(VALU_DEP_1)
	v_lshlrev_b64_e32 v[1:2], s12, v[10:11]
	s_add_nc_u64 s[12:13], s[12:13], 8
	v_or_b32_e32 v24, v1, v24
	s_delay_alu instid0(VALU_DEP_2)
	v_or_b32_e32 v25, v2, v25
	s_cbranch_scc1 .LBB5_84
.LBB5_85:                               ;   in Loop: Header=BB5_39 Depth=1
	s_cbranch_execz .LBB5_87
	s_branch .LBB5_88
.LBB5_86:                               ;   in Loop: Header=BB5_39 Depth=1
.LBB5_87:                               ;   in Loop: Header=BB5_39 Depth=1
	global_load_b64 v[24:25], v11, s[10:11]
.LBB5_88:                               ;   in Loop: Header=BB5_39 Depth=1
	v_readfirstlane_b32 s1, v35
	v_mov_b32_e32 v1, 0
	v_mov_b32_e32 v2, 0
	s_wait_alu 0xf1ff
	s_delay_alu instid0(VALU_DEP_3)
	v_cmp_eq_u32_e64 s1, s1, v35
	s_and_saveexec_b32 s10, s1
	s_cbranch_execz .LBB5_94
; %bb.89:                               ;   in Loop: Header=BB5_39 Depth=1
	global_load_b64 v[28:29], v11, s[2:3] offset:24 scope:SCOPE_SYS
	s_wait_loadcnt 0x0
	global_inv scope:SCOPE_SYS
	s_clause 0x1
	global_load_b64 v[1:2], v11, s[2:3] offset:40
	global_load_b64 v[26:27], v11, s[2:3]
	s_mov_b32 s11, exec_lo
	s_wait_loadcnt 0x1
	v_and_b32_e32 v2, v2, v29
	v_and_b32_e32 v1, v1, v28
	s_delay_alu instid0(VALU_DEP_2) | instskip(NEXT) | instid1(VALU_DEP_2)
	v_mul_lo_u32 v2, 24, v2
	v_mul_lo_u32 v10, 0, v1
	v_mul_hi_u32 v31, 24, v1
	v_mul_lo_u32 v1, 24, v1
	s_delay_alu instid0(VALU_DEP_3) | instskip(SKIP_1) | instid1(VALU_DEP_2)
	v_add_nc_u32_e32 v2, v2, v10
	s_wait_loadcnt 0x0
	v_add_co_u32 v1, vcc_lo, v26, v1
	s_delay_alu instid0(VALU_DEP_2) | instskip(SKIP_1) | instid1(VALU_DEP_1)
	v_add_nc_u32_e32 v2, v2, v31
	s_wait_alu 0xfffd
	v_add_co_ci_u32_e64 v2, null, v27, v2, vcc_lo
	global_load_b64 v[26:27], v[1:2], off scope:SCOPE_SYS
	s_wait_loadcnt 0x0
	global_atomic_cmpswap_b64 v[1:2], v11, v[26:29], s[2:3] offset:24 th:TH_ATOMIC_RETURN scope:SCOPE_SYS
	s_wait_loadcnt 0x0
	global_inv scope:SCOPE_SYS
	v_cmpx_ne_u64_e64 v[1:2], v[28:29]
	s_cbranch_execz .LBB5_93
; %bb.90:                               ;   in Loop: Header=BB5_39 Depth=1
	s_mov_b32 s12, 0
.LBB5_91:                               ;   Parent Loop BB5_39 Depth=1
                                        ; =>  This Inner Loop Header: Depth=2
	s_sleep 1
	s_clause 0x1
	global_load_b64 v[26:27], v11, s[2:3] offset:40
	global_load_b64 v[31:32], v11, s[2:3]
	v_dual_mov_b32 v29, v2 :: v_dual_mov_b32 v28, v1
	s_wait_loadcnt 0x1
	s_delay_alu instid0(VALU_DEP_1) | instskip(NEXT) | instid1(VALU_DEP_2)
	v_and_b32_e32 v1, v26, v28
	v_and_b32_e32 v10, v27, v29
	s_wait_loadcnt 0x0
	s_delay_alu instid0(VALU_DEP_2) | instskip(NEXT) | instid1(VALU_DEP_1)
	v_mad_co_u64_u32 v[1:2], null, v1, 24, v[31:32]
	v_mad_co_u64_u32 v[26:27], null, v10, 24, v[2:3]
	s_delay_alu instid0(VALU_DEP_1)
	v_mov_b32_e32 v2, v26
	global_load_b64 v[26:27], v[1:2], off scope:SCOPE_SYS
	s_wait_loadcnt 0x0
	global_atomic_cmpswap_b64 v[1:2], v11, v[26:29], s[2:3] offset:24 th:TH_ATOMIC_RETURN scope:SCOPE_SYS
	s_wait_loadcnt 0x0
	global_inv scope:SCOPE_SYS
	v_cmp_eq_u64_e32 vcc_lo, v[1:2], v[28:29]
	s_wait_alu 0xfffe
	s_or_b32 s12, vcc_lo, s12
	s_wait_alu 0xfffe
	s_and_not1_b32 exec_lo, exec_lo, s12
	s_cbranch_execnz .LBB5_91
; %bb.92:                               ;   in Loop: Header=BB5_39 Depth=1
	s_or_b32 exec_lo, exec_lo, s12
.LBB5_93:                               ;   in Loop: Header=BB5_39 Depth=1
	s_wait_alu 0xfffe
	s_or_b32 exec_lo, exec_lo, s11
.LBB5_94:                               ;   in Loop: Header=BB5_39 Depth=1
	s_wait_alu 0xfffe
	s_or_b32 exec_lo, exec_lo, s10
	s_clause 0x1
	global_load_b64 v[31:32], v11, s[2:3] offset:40
	global_load_b128 v[26:29], v11, s[2:3]
	v_readfirstlane_b32 s11, v2
	v_readfirstlane_b32 s10, v1
	s_mov_b32 s12, exec_lo
	s_wait_loadcnt 0x1
	s_wait_alu 0xf1ff
	v_and_b32_e32 v32, s11, v32
	v_and_b32_e32 v31, s10, v31
	s_delay_alu instid0(VALU_DEP_2) | instskip(NEXT) | instid1(VALU_DEP_2)
	v_mul_lo_u32 v1, 24, v32
	v_mul_lo_u32 v2, 0, v31
	v_mul_hi_u32 v10, 24, v31
	v_mul_lo_u32 v38, 24, v31
	s_delay_alu instid0(VALU_DEP_3) | instskip(NEXT) | instid1(VALU_DEP_1)
	v_add_nc_u32_e32 v1, v1, v2
	v_add_nc_u32_e32 v2, v1, v10
	s_wait_loadcnt 0x0
	s_delay_alu instid0(VALU_DEP_3) | instskip(SKIP_1) | instid1(VALU_DEP_2)
	v_add_co_u32 v1, vcc_lo, v26, v38
	s_wait_alu 0xfffd
	v_add_co_ci_u32_e64 v2, null, v27, v2, vcc_lo
	s_and_saveexec_b32 s13, s1
	s_cbranch_execz .LBB5_96
; %bb.95:                               ;   in Loop: Header=BB5_39 Depth=1
	s_wait_alu 0xfffe
	v_mov_b32_e32 v10, s12
	global_store_b128 v[1:2], v[10:13], off offset:8
.LBB5_96:                               ;   in Loop: Header=BB5_39 Depth=1
	s_wait_alu 0xfffe
	s_or_b32 exec_lo, exec_lo, s13
	v_cmp_lt_u64_e64 vcc_lo, s[6:7], 57
	v_lshlrev_b64_e32 v[31:32], 12, v[31:32]
	v_and_b32_e32 v6, 0xffffff1f, v6
	s_lshl_b32 s12, s8, 2
	s_wait_alu 0xfffe
	s_add_co_i32 s12, s12, 28
	s_wait_alu 0xfffd
	v_cndmask_b32_e32 v10, 0, v37, vcc_lo
	v_add_co_u32 v28, vcc_lo, v28, v31
	s_wait_alu 0xfffd
	v_add_co_ci_u32_e64 v29, null, v29, v32, vcc_lo
	s_delay_alu instid0(VALU_DEP_3) | instskip(NEXT) | instid1(VALU_DEP_2)
	v_or_b32_e32 v6, v6, v10
	v_readfirstlane_b32 s13, v29
	s_wait_alu 0xfffe
	s_delay_alu instid0(VALU_DEP_2)
	v_and_or_b32 v6, 0x1e0, s12, v6
	v_readfirstlane_b32 s12, v28
	s_clause 0x3
	global_store_b128 v34, v[6:9], s[12:13]
	global_store_b128 v34, v[14:17], s[12:13] offset:16
	global_store_b128 v34, v[18:21], s[12:13] offset:32
	;; [unrolled: 1-line block ×3, first 2 shown]
	s_and_saveexec_b32 s12, s1
	s_cbranch_execz .LBB5_104
; %bb.97:                               ;   in Loop: Header=BB5_39 Depth=1
	s_clause 0x1
	global_load_b64 v[18:19], v11, s[2:3] offset:32 scope:SCOPE_SYS
	global_load_b64 v[6:7], v11, s[2:3] offset:40
	s_mov_b32 s13, exec_lo
	v_dual_mov_b32 v16, s10 :: v_dual_mov_b32 v17, s11
	s_wait_loadcnt 0x0
	v_and_b32_e32 v6, s10, v6
	v_and_b32_e32 v7, s11, v7
	s_delay_alu instid0(VALU_DEP_2) | instskip(NEXT) | instid1(VALU_DEP_2)
	v_mul_lo_u32 v8, 0, v6
	v_mul_lo_u32 v7, 24, v7
	v_mul_hi_u32 v9, 24, v6
	v_mul_lo_u32 v6, 24, v6
	s_delay_alu instid0(VALU_DEP_3) | instskip(NEXT) | instid1(VALU_DEP_2)
	v_add_nc_u32_e32 v7, v7, v8
	v_add_co_u32 v14, vcc_lo, v26, v6
	s_delay_alu instid0(VALU_DEP_2) | instskip(SKIP_1) | instid1(VALU_DEP_1)
	v_add_nc_u32_e32 v7, v7, v9
	s_wait_alu 0xfffd
	v_add_co_ci_u32_e64 v15, null, v27, v7, vcc_lo
	global_store_b64 v[14:15], v[18:19], off
	global_wb scope:SCOPE_SYS
	s_wait_storecnt 0x0
	global_atomic_cmpswap_b64 v[8:9], v11, v[16:19], s[2:3] offset:32 th:TH_ATOMIC_RETURN scope:SCOPE_SYS
	s_wait_loadcnt 0x0
	v_cmpx_ne_u64_e64 v[8:9], v[18:19]
	s_cbranch_execz .LBB5_100
; %bb.98:                               ;   in Loop: Header=BB5_39 Depth=1
	s_mov_b32 s14, 0
.LBB5_99:                               ;   Parent Loop BB5_39 Depth=1
                                        ; =>  This Inner Loop Header: Depth=2
	v_dual_mov_b32 v6, s10 :: v_dual_mov_b32 v7, s11
	s_sleep 1
	global_store_b64 v[14:15], v[8:9], off
	global_wb scope:SCOPE_SYS
	s_wait_storecnt 0x0
	global_atomic_cmpswap_b64 v[6:7], v11, v[6:9], s[2:3] offset:32 th:TH_ATOMIC_RETURN scope:SCOPE_SYS
	s_wait_loadcnt 0x0
	v_cmp_eq_u64_e32 vcc_lo, v[6:7], v[8:9]
	v_dual_mov_b32 v9, v7 :: v_dual_mov_b32 v8, v6
	s_wait_alu 0xfffe
	s_or_b32 s14, vcc_lo, s14
	s_wait_alu 0xfffe
	s_and_not1_b32 exec_lo, exec_lo, s14
	s_cbranch_execnz .LBB5_99
.LBB5_100:                              ;   in Loop: Header=BB5_39 Depth=1
	s_wait_alu 0xfffe
	s_or_b32 exec_lo, exec_lo, s13
	global_load_b64 v[6:7], v11, s[2:3] offset:16
	s_mov_b32 s14, exec_lo
	s_mov_b32 s13, exec_lo
	s_wait_alu 0xfffe
	v_mbcnt_lo_u32_b32 v8, s14, 0
	s_delay_alu instid0(VALU_DEP_1)
	v_cmpx_eq_u32_e32 0, v8
	s_cbranch_execz .LBB5_102
; %bb.101:                              ;   in Loop: Header=BB5_39 Depth=1
	s_bcnt1_i32_b32 s14, s14
	s_wait_alu 0xfffe
	v_mov_b32_e32 v10, s14
	global_wb scope:SCOPE_SYS
	s_wait_loadcnt 0x0
	s_wait_storecnt 0x0
	global_atomic_add_u64 v[6:7], v[10:11], off offset:8 scope:SCOPE_SYS
.LBB5_102:                              ;   in Loop: Header=BB5_39 Depth=1
	s_or_b32 exec_lo, exec_lo, s13
	s_wait_loadcnt 0x0
	global_load_b64 v[8:9], v[6:7], off offset:16
	s_wait_loadcnt 0x0
	v_cmp_eq_u64_e32 vcc_lo, 0, v[8:9]
	s_cbranch_vccnz .LBB5_104
; %bb.103:                              ;   in Loop: Header=BB5_39 Depth=1
	global_load_b32 v10, v[6:7], off offset:24
	s_wait_loadcnt 0x0
	v_readfirstlane_b32 s13, v10
	global_wb scope:SCOPE_SYS
	s_wait_storecnt 0x0
	global_store_b64 v[8:9], v[10:11], off scope:SCOPE_SYS
	s_and_b32 m0, s13, 0xffffff
	s_sendmsg sendmsg(MSG_INTERRUPT)
.LBB5_104:                              ;   in Loop: Header=BB5_39 Depth=1
	s_wait_alu 0xfffe
	s_or_b32 exec_lo, exec_lo, s12
	v_add_co_u32 v6, vcc_lo, v28, v34
	s_wait_alu 0xfffd
	v_add_co_ci_u32_e64 v7, null, 0, v29, vcc_lo
	s_branch .LBB5_108
.LBB5_105:                              ;   in Loop: Header=BB5_108 Depth=2
	s_wait_alu 0xfffe
	s_or_b32 exec_lo, exec_lo, s12
	s_delay_alu instid0(VALU_DEP_1)
	v_readfirstlane_b32 s12, v8
	s_cmp_eq_u32 s12, 0
	s_cbranch_scc1 .LBB5_107
; %bb.106:                              ;   in Loop: Header=BB5_108 Depth=2
	s_sleep 1
	s_cbranch_execnz .LBB5_108
	s_branch .LBB5_110
.LBB5_107:                              ;   in Loop: Header=BB5_39 Depth=1
	s_branch .LBB5_110
.LBB5_108:                              ;   Parent Loop BB5_39 Depth=1
                                        ; =>  This Inner Loop Header: Depth=2
	v_mov_b32_e32 v8, 1
	s_and_saveexec_b32 s12, s1
	s_cbranch_execz .LBB5_105
; %bb.109:                              ;   in Loop: Header=BB5_108 Depth=2
	global_load_b32 v8, v[1:2], off offset:20 scope:SCOPE_SYS
	s_wait_loadcnt 0x0
	global_inv scope:SCOPE_SYS
	v_and_b32_e32 v8, 1, v8
	s_branch .LBB5_105
.LBB5_110:                              ;   in Loop: Header=BB5_39 Depth=1
	global_load_b64 v[6:7], v[6:7], off
	s_and_saveexec_b32 s12, s1
	s_cbranch_execz .LBB5_38
; %bb.111:                              ;   in Loop: Header=BB5_39 Depth=1
	s_clause 0x2
	global_load_b64 v[1:2], v11, s[2:3] offset:40
	global_load_b64 v[18:19], v11, s[2:3] offset:24 scope:SCOPE_SYS
	global_load_b64 v[8:9], v11, s[2:3]
	s_wait_loadcnt 0x2
	v_readfirstlane_b32 s14, v1
	v_readfirstlane_b32 s15, v2
	s_add_nc_u64 s[20:21], s[14:15], 1
	s_wait_alu 0xfffe
	s_add_nc_u64 s[10:11], s[20:21], s[10:11]
	s_wait_alu 0xfffe
	s_cmp_eq_u64 s[10:11], 0
	s_cselect_b32 s11, s21, s11
	s_cselect_b32 s10, s20, s10
	s_wait_alu 0xfffe
	v_dual_mov_b32 v17, s11 :: v_dual_mov_b32 v16, s10
	s_and_b64 s[14:15], s[10:11], s[14:15]
	s_wait_alu 0xfffe
	s_mul_u64 s[14:15], s[14:15], 24
	s_wait_loadcnt 0x0
	s_wait_alu 0xfffe
	v_add_co_u32 v1, vcc_lo, v8, s14
	s_wait_alu 0xfffd
	v_add_co_ci_u32_e64 v2, null, s15, v9, vcc_lo
	global_store_b64 v[1:2], v[18:19], off
	global_wb scope:SCOPE_SYS
	s_wait_storecnt 0x0
	global_atomic_cmpswap_b64 v[16:17], v11, v[16:19], s[2:3] offset:24 th:TH_ATOMIC_RETURN scope:SCOPE_SYS
	s_wait_loadcnt 0x0
	v_cmp_ne_u64_e32 vcc_lo, v[16:17], v[18:19]
	s_and_b32 exec_lo, exec_lo, vcc_lo
	s_cbranch_execz .LBB5_38
; %bb.112:                              ;   in Loop: Header=BB5_39 Depth=1
	s_mov_b32 s1, 0
.LBB5_113:                              ;   Parent Loop BB5_39 Depth=1
                                        ; =>  This Inner Loop Header: Depth=2
	v_dual_mov_b32 v14, s10 :: v_dual_mov_b32 v15, s11
	s_sleep 1
	global_store_b64 v[1:2], v[16:17], off
	global_wb scope:SCOPE_SYS
	s_wait_storecnt 0x0
	global_atomic_cmpswap_b64 v[8:9], v11, v[14:17], s[2:3] offset:24 th:TH_ATOMIC_RETURN scope:SCOPE_SYS
	s_wait_loadcnt 0x0
	v_cmp_eq_u64_e32 vcc_lo, v[8:9], v[16:17]
	v_dual_mov_b32 v17, v9 :: v_dual_mov_b32 v16, v8
	s_wait_alu 0xfffe
	s_or_b32 s1, vcc_lo, s1
	s_wait_alu 0xfffe
	s_and_not1_b32 exec_lo, exec_lo, s1
	s_cbranch_execnz .LBB5_113
	s_branch .LBB5_38
.LBB5_114:
	s_branch .LBB5_142
.LBB5_115:
                                        ; implicit-def: $vgpr6_vgpr7
	s_cbranch_execz .LBB5_142
; %bb.116:
	v_readfirstlane_b32 s1, v35
	v_mov_b32_e32 v1, 0
	v_mov_b32_e32 v2, 0
	s_wait_alu 0xf1ff
	s_delay_alu instid0(VALU_DEP_3)
	v_cmp_eq_u32_e64 s1, s1, v35
	s_and_saveexec_b32 s4, s1
	s_cbranch_execz .LBB5_122
; %bb.117:
	s_wait_loadcnt 0x0
	v_mov_b32_e32 v6, 0
	s_mov_b32 s5, exec_lo
	global_load_b64 v[9:10], v6, s[2:3] offset:24 scope:SCOPE_SYS
	s_wait_loadcnt 0x0
	global_inv scope:SCOPE_SYS
	s_clause 0x1
	global_load_b64 v[1:2], v6, s[2:3] offset:40
	global_load_b64 v[7:8], v6, s[2:3]
	s_wait_loadcnt 0x1
	v_and_b32_e32 v2, v2, v10
	v_and_b32_e32 v1, v1, v9
	s_delay_alu instid0(VALU_DEP_2) | instskip(NEXT) | instid1(VALU_DEP_2)
	v_mul_lo_u32 v2, 24, v2
	v_mul_lo_u32 v11, 0, v1
	v_mul_hi_u32 v12, 24, v1
	v_mul_lo_u32 v1, 24, v1
	s_delay_alu instid0(VALU_DEP_3) | instskip(SKIP_1) | instid1(VALU_DEP_2)
	v_add_nc_u32_e32 v2, v2, v11
	s_wait_loadcnt 0x0
	v_add_co_u32 v1, vcc_lo, v7, v1
	s_delay_alu instid0(VALU_DEP_2) | instskip(SKIP_1) | instid1(VALU_DEP_1)
	v_add_nc_u32_e32 v2, v2, v12
	s_wait_alu 0xfffd
	v_add_co_ci_u32_e64 v2, null, v8, v2, vcc_lo
	global_load_b64 v[7:8], v[1:2], off scope:SCOPE_SYS
	s_wait_loadcnt 0x0
	global_atomic_cmpswap_b64 v[1:2], v6, v[7:10], s[2:3] offset:24 th:TH_ATOMIC_RETURN scope:SCOPE_SYS
	s_wait_loadcnt 0x0
	global_inv scope:SCOPE_SYS
	v_cmpx_ne_u64_e64 v[1:2], v[9:10]
	s_cbranch_execz .LBB5_121
; %bb.118:
	s_mov_b32 s6, 0
.LBB5_119:                              ; =>This Inner Loop Header: Depth=1
	s_sleep 1
	s_clause 0x1
	global_load_b64 v[7:8], v6, s[2:3] offset:40
	global_load_b64 v[11:12], v6, s[2:3]
	v_dual_mov_b32 v10, v2 :: v_dual_mov_b32 v9, v1
	s_wait_loadcnt 0x1
	s_delay_alu instid0(VALU_DEP_1) | instskip(NEXT) | instid1(VALU_DEP_2)
	v_and_b32_e32 v1, v7, v9
	v_and_b32_e32 v7, v8, v10
	s_wait_loadcnt 0x0
	s_delay_alu instid0(VALU_DEP_2) | instskip(NEXT) | instid1(VALU_DEP_1)
	v_mad_co_u64_u32 v[1:2], null, v1, 24, v[11:12]
	v_mad_co_u64_u32 v[7:8], null, v7, 24, v[2:3]
	s_delay_alu instid0(VALU_DEP_1)
	v_mov_b32_e32 v2, v7
	global_load_b64 v[7:8], v[1:2], off scope:SCOPE_SYS
	s_wait_loadcnt 0x0
	global_atomic_cmpswap_b64 v[1:2], v6, v[7:10], s[2:3] offset:24 th:TH_ATOMIC_RETURN scope:SCOPE_SYS
	s_wait_loadcnt 0x0
	global_inv scope:SCOPE_SYS
	v_cmp_eq_u64_e32 vcc_lo, v[1:2], v[9:10]
	s_wait_alu 0xfffe
	s_or_b32 s6, vcc_lo, s6
	s_wait_alu 0xfffe
	s_and_not1_b32 exec_lo, exec_lo, s6
	s_cbranch_execnz .LBB5_119
; %bb.120:
	s_or_b32 exec_lo, exec_lo, s6
.LBB5_121:
	s_wait_alu 0xfffe
	s_or_b32 exec_lo, exec_lo, s5
.LBB5_122:
	s_wait_alu 0xfffe
	s_or_b32 exec_lo, exec_lo, s4
	v_readfirstlane_b32 s5, v2
	s_wait_loadcnt 0x0
	v_mov_b32_e32 v6, 0
	v_readfirstlane_b32 s4, v1
	s_mov_b32 s6, exec_lo
	s_clause 0x1
	global_load_b64 v[12:13], v6, s[2:3] offset:40
	global_load_b128 v[8:11], v6, s[2:3]
	s_wait_loadcnt 0x1
	s_wait_alu 0xf1ff
	v_and_b32_e32 v13, s5, v13
	v_and_b32_e32 v12, s4, v12
	s_delay_alu instid0(VALU_DEP_2) | instskip(NEXT) | instid1(VALU_DEP_2)
	v_mul_lo_u32 v1, 24, v13
	v_mul_lo_u32 v2, 0, v12
	v_mul_hi_u32 v7, 24, v12
	v_mul_lo_u32 v14, 24, v12
	s_delay_alu instid0(VALU_DEP_3) | instskip(NEXT) | instid1(VALU_DEP_1)
	v_add_nc_u32_e32 v1, v1, v2
	v_add_nc_u32_e32 v2, v1, v7
	s_wait_loadcnt 0x0
	s_delay_alu instid0(VALU_DEP_3) | instskip(SKIP_1) | instid1(VALU_DEP_2)
	v_add_co_u32 v1, vcc_lo, v8, v14
	s_wait_alu 0xfffd
	v_add_co_ci_u32_e64 v2, null, v9, v2, vcc_lo
	s_and_saveexec_b32 s7, s1
	s_cbranch_execz .LBB5_124
; %bb.123:
	s_wait_alu 0xfffe
	v_dual_mov_b32 v14, s6 :: v_dual_mov_b32 v15, v6
	v_dual_mov_b32 v16, 2 :: v_dual_mov_b32 v17, 1
	global_store_b128 v[1:2], v[14:17], off offset:8
.LBB5_124:
	s_wait_alu 0xfffe
	s_or_b32 exec_lo, exec_lo, s7
	v_lshlrev_b64_e32 v[12:13], 12, v[12:13]
	s_mov_b32 s8, 0
	v_and_or_b32 v4, 0xffffff1f, v4, 32
	s_wait_alu 0xfffe
	s_mov_b32 s11, s8
	s_mov_b32 s9, s8
	;; [unrolled: 1-line block ×3, first 2 shown]
	v_add_co_u32 v10, vcc_lo, v10, v12
	s_wait_alu 0xfffd
	v_add_co_ci_u32_e64 v11, null, v11, v13, vcc_lo
	v_mov_b32_e32 v7, v6
	s_delay_alu instid0(VALU_DEP_3) | instskip(SKIP_1) | instid1(VALU_DEP_4)
	v_readfirstlane_b32 s6, v10
	v_add_co_u32 v10, vcc_lo, v10, v34
	v_readfirstlane_b32 s7, v11
	s_wait_alu 0xfffe
	v_dual_mov_b32 v15, s11 :: v_dual_mov_b32 v12, s8
	s_wait_alu 0xfffd
	v_add_co_ci_u32_e64 v11, null, 0, v11, vcc_lo
	v_dual_mov_b32 v14, s10 :: v_dual_mov_b32 v13, s9
	s_clause 0x3
	global_store_b128 v34, v[4:7], s[6:7]
	global_store_b128 v34, v[12:15], s[6:7] offset:16
	global_store_b128 v34, v[12:15], s[6:7] offset:32
	;; [unrolled: 1-line block ×3, first 2 shown]
	s_and_saveexec_b32 s6, s1
	s_cbranch_execz .LBB5_131
; %bb.125:
	v_mov_b32_e32 v12, 0
	s_mov_b32 s7, exec_lo
	s_clause 0x1
	global_load_b64 v[15:16], v12, s[2:3] offset:32 scope:SCOPE_SYS
	global_load_b64 v[4:5], v12, s[2:3] offset:40
	v_dual_mov_b32 v13, s4 :: v_dual_mov_b32 v14, s5
	s_wait_loadcnt 0x0
	v_and_b32_e32 v5, s5, v5
	v_and_b32_e32 v4, s4, v4
	s_delay_alu instid0(VALU_DEP_2) | instskip(NEXT) | instid1(VALU_DEP_2)
	v_mul_lo_u32 v5, 24, v5
	v_mul_lo_u32 v6, 0, v4
	v_mul_hi_u32 v7, 24, v4
	v_mul_lo_u32 v4, 24, v4
	s_delay_alu instid0(VALU_DEP_3) | instskip(NEXT) | instid1(VALU_DEP_2)
	v_add_nc_u32_e32 v5, v5, v6
	v_add_co_u32 v8, vcc_lo, v8, v4
	s_delay_alu instid0(VALU_DEP_2) | instskip(SKIP_1) | instid1(VALU_DEP_1)
	v_add_nc_u32_e32 v5, v5, v7
	s_wait_alu 0xfffd
	v_add_co_ci_u32_e64 v9, null, v9, v5, vcc_lo
	global_store_b64 v[8:9], v[15:16], off
	global_wb scope:SCOPE_SYS
	s_wait_storecnt 0x0
	global_atomic_cmpswap_b64 v[6:7], v12, v[13:16], s[2:3] offset:32 th:TH_ATOMIC_RETURN scope:SCOPE_SYS
	s_wait_loadcnt 0x0
	v_cmpx_ne_u64_e64 v[6:7], v[15:16]
	s_cbranch_execz .LBB5_127
.LBB5_126:                              ; =>This Inner Loop Header: Depth=1
	v_dual_mov_b32 v4, s4 :: v_dual_mov_b32 v5, s5
	s_sleep 1
	global_store_b64 v[8:9], v[6:7], off
	global_wb scope:SCOPE_SYS
	s_wait_storecnt 0x0
	global_atomic_cmpswap_b64 v[4:5], v12, v[4:7], s[2:3] offset:32 th:TH_ATOMIC_RETURN scope:SCOPE_SYS
	s_wait_loadcnt 0x0
	v_cmp_eq_u64_e32 vcc_lo, v[4:5], v[6:7]
	v_dual_mov_b32 v7, v5 :: v_dual_mov_b32 v6, v4
	s_or_b32 s8, vcc_lo, s8
	s_wait_alu 0xfffe
	s_and_not1_b32 exec_lo, exec_lo, s8
	s_cbranch_execnz .LBB5_126
.LBB5_127:
	s_wait_alu 0xfffe
	s_or_b32 exec_lo, exec_lo, s7
	v_mov_b32_e32 v7, 0
	s_mov_b32 s8, exec_lo
	s_mov_b32 s7, exec_lo
	s_wait_alu 0xfffe
	v_mbcnt_lo_u32_b32 v6, s8, 0
	global_load_b64 v[4:5], v7, s[2:3] offset:16
	v_cmpx_eq_u32_e32 0, v6
	s_cbranch_execz .LBB5_129
; %bb.128:
	s_bcnt1_i32_b32 s8, s8
	s_wait_alu 0xfffe
	v_mov_b32_e32 v6, s8
	global_wb scope:SCOPE_SYS
	s_wait_loadcnt 0x0
	s_wait_storecnt 0x0
	global_atomic_add_u64 v[4:5], v[6:7], off offset:8 scope:SCOPE_SYS
.LBB5_129:
	s_or_b32 exec_lo, exec_lo, s7
	s_wait_loadcnt 0x0
	global_load_b64 v[6:7], v[4:5], off offset:16
	s_wait_loadcnt 0x0
	v_cmp_eq_u64_e32 vcc_lo, 0, v[6:7]
	s_cbranch_vccnz .LBB5_131
; %bb.130:
	global_load_b32 v4, v[4:5], off offset:24
	v_mov_b32_e32 v5, 0
	s_wait_loadcnt 0x0
	v_readfirstlane_b32 s7, v4
	global_wb scope:SCOPE_SYS
	s_wait_storecnt 0x0
	global_store_b64 v[6:7], v[4:5], off scope:SCOPE_SYS
	s_and_b32 m0, s7, 0xffffff
	s_sendmsg sendmsg(MSG_INTERRUPT)
.LBB5_131:
	s_wait_alu 0xfffe
	s_or_b32 exec_lo, exec_lo, s6
	s_branch .LBB5_135
.LBB5_132:                              ;   in Loop: Header=BB5_135 Depth=1
	s_wait_alu 0xfffe
	s_or_b32 exec_lo, exec_lo, s6
	s_delay_alu instid0(VALU_DEP_1)
	v_readfirstlane_b32 s6, v4
	s_cmp_eq_u32 s6, 0
	s_cbranch_scc1 .LBB5_134
; %bb.133:                              ;   in Loop: Header=BB5_135 Depth=1
	s_sleep 1
	s_cbranch_execnz .LBB5_135
	s_branch .LBB5_137
.LBB5_134:
	s_branch .LBB5_137
.LBB5_135:                              ; =>This Inner Loop Header: Depth=1
	v_mov_b32_e32 v4, 1
	s_and_saveexec_b32 s6, s1
	s_cbranch_execz .LBB5_132
; %bb.136:                              ;   in Loop: Header=BB5_135 Depth=1
	global_load_b32 v4, v[1:2], off offset:20 scope:SCOPE_SYS
	s_wait_loadcnt 0x0
	global_inv scope:SCOPE_SYS
	v_and_b32_e32 v4, 1, v4
	s_branch .LBB5_132
.LBB5_137:
	global_load_b64 v[6:7], v[10:11], off
	s_and_saveexec_b32 s6, s1
	s_cbranch_execz .LBB5_141
; %bb.138:
	v_mov_b32_e32 v4, 0
	s_clause 0x2
	global_load_b64 v[1:2], v4, s[2:3] offset:40
	global_load_b64 v[12:13], v4, s[2:3] offset:24 scope:SCOPE_SYS
	global_load_b64 v[8:9], v4, s[2:3]
	s_wait_loadcnt 0x2
	v_readfirstlane_b32 s8, v1
	v_readfirstlane_b32 s9, v2
	s_add_nc_u64 s[10:11], s[8:9], 1
	s_wait_alu 0xfffe
	s_add_nc_u64 s[4:5], s[10:11], s[4:5]
	s_wait_alu 0xfffe
	s_cmp_eq_u64 s[4:5], 0
	s_cselect_b32 s5, s11, s5
	s_cselect_b32 s4, s10, s4
	s_wait_alu 0xfffe
	v_mov_b32_e32 v11, s5
	s_and_b64 s[8:9], s[4:5], s[8:9]
	v_mov_b32_e32 v10, s4
	s_wait_alu 0xfffe
	s_mul_u64 s[8:9], s[8:9], 24
	s_wait_loadcnt 0x0
	s_wait_alu 0xfffe
	v_add_co_u32 v1, vcc_lo, v8, s8
	s_wait_alu 0xfffd
	v_add_co_ci_u32_e64 v2, null, s9, v9, vcc_lo
	global_store_b64 v[1:2], v[12:13], off
	global_wb scope:SCOPE_SYS
	s_wait_storecnt 0x0
	global_atomic_cmpswap_b64 v[10:11], v4, v[10:13], s[2:3] offset:24 th:TH_ATOMIC_RETURN scope:SCOPE_SYS
	s_wait_loadcnt 0x0
	v_cmp_ne_u64_e32 vcc_lo, v[10:11], v[12:13]
	s_and_b32 exec_lo, exec_lo, vcc_lo
	s_cbranch_execz .LBB5_141
; %bb.139:
	s_mov_b32 s1, 0
.LBB5_140:                              ; =>This Inner Loop Header: Depth=1
	v_dual_mov_b32 v8, s4 :: v_dual_mov_b32 v9, s5
	s_sleep 1
	global_store_b64 v[1:2], v[10:11], off
	global_wb scope:SCOPE_SYS
	s_wait_storecnt 0x0
	global_atomic_cmpswap_b64 v[8:9], v4, v[8:11], s[2:3] offset:24 th:TH_ATOMIC_RETURN scope:SCOPE_SYS
	s_wait_loadcnt 0x0
	v_cmp_eq_u64_e32 vcc_lo, v[8:9], v[10:11]
	v_dual_mov_b32 v11, v9 :: v_dual_mov_b32 v10, v8
	s_wait_alu 0xfffe
	s_or_b32 s1, vcc_lo, s1
	s_wait_alu 0xfffe
	s_and_not1_b32 exec_lo, exec_lo, s1
	s_cbranch_execnz .LBB5_140
.LBB5_141:
	s_wait_alu 0xfffe
	s_or_b32 exec_lo, exec_lo, s6
.LBB5_142:
	v_readfirstlane_b32 s1, v35
	v_mov_b32_e32 v1, 0
	v_mov_b32_e32 v2, 0
	s_wait_alu 0xf1ff
	s_delay_alu instid0(VALU_DEP_3)
	v_cmp_eq_u32_e64 s1, s1, v35
	s_and_saveexec_b32 s4, s1
	s_cbranch_execz .LBB5_148
; %bb.143:
	s_wait_loadcnt 0x0
	v_mov_b32_e32 v4, 0
	s_mov_b32 s5, exec_lo
	global_load_b64 v[10:11], v4, s[2:3] offset:24 scope:SCOPE_SYS
	s_wait_loadcnt 0x0
	global_inv scope:SCOPE_SYS
	s_clause 0x1
	global_load_b64 v[1:2], v4, s[2:3] offset:40
	global_load_b64 v[8:9], v4, s[2:3]
	s_wait_loadcnt 0x1
	v_and_b32_e32 v2, v2, v11
	v_and_b32_e32 v1, v1, v10
	s_delay_alu instid0(VALU_DEP_2) | instskip(NEXT) | instid1(VALU_DEP_2)
	v_mul_lo_u32 v2, 24, v2
	v_mul_lo_u32 v5, 0, v1
	v_mul_hi_u32 v12, 24, v1
	v_mul_lo_u32 v1, 24, v1
	s_delay_alu instid0(VALU_DEP_3) | instskip(SKIP_1) | instid1(VALU_DEP_2)
	v_add_nc_u32_e32 v2, v2, v5
	s_wait_loadcnt 0x0
	v_add_co_u32 v1, vcc_lo, v8, v1
	s_delay_alu instid0(VALU_DEP_2) | instskip(SKIP_1) | instid1(VALU_DEP_1)
	v_add_nc_u32_e32 v2, v2, v12
	s_wait_alu 0xfffd
	v_add_co_ci_u32_e64 v2, null, v9, v2, vcc_lo
	global_load_b64 v[8:9], v[1:2], off scope:SCOPE_SYS
	s_wait_loadcnt 0x0
	global_atomic_cmpswap_b64 v[1:2], v4, v[8:11], s[2:3] offset:24 th:TH_ATOMIC_RETURN scope:SCOPE_SYS
	s_wait_loadcnt 0x0
	global_inv scope:SCOPE_SYS
	v_cmpx_ne_u64_e64 v[1:2], v[10:11]
	s_cbranch_execz .LBB5_147
; %bb.144:
	s_mov_b32 s6, 0
.LBB5_145:                              ; =>This Inner Loop Header: Depth=1
	s_sleep 1
	s_clause 0x1
	global_load_b64 v[8:9], v4, s[2:3] offset:40
	global_load_b64 v[12:13], v4, s[2:3]
	v_dual_mov_b32 v11, v2 :: v_dual_mov_b32 v10, v1
	s_wait_loadcnt 0x1
	s_delay_alu instid0(VALU_DEP_1) | instskip(NEXT) | instid1(VALU_DEP_2)
	v_and_b32_e32 v1, v8, v10
	v_and_b32_e32 v5, v9, v11
	s_wait_loadcnt 0x0
	s_delay_alu instid0(VALU_DEP_2) | instskip(NEXT) | instid1(VALU_DEP_1)
	v_mad_co_u64_u32 v[1:2], null, v1, 24, v[12:13]
	v_mad_co_u64_u32 v[8:9], null, v5, 24, v[2:3]
	s_delay_alu instid0(VALU_DEP_1)
	v_mov_b32_e32 v2, v8
	global_load_b64 v[8:9], v[1:2], off scope:SCOPE_SYS
	s_wait_loadcnt 0x0
	global_atomic_cmpswap_b64 v[1:2], v4, v[8:11], s[2:3] offset:24 th:TH_ATOMIC_RETURN scope:SCOPE_SYS
	s_wait_loadcnt 0x0
	global_inv scope:SCOPE_SYS
	v_cmp_eq_u64_e32 vcc_lo, v[1:2], v[10:11]
	s_wait_alu 0xfffe
	s_or_b32 s6, vcc_lo, s6
	s_wait_alu 0xfffe
	s_and_not1_b32 exec_lo, exec_lo, s6
	s_cbranch_execnz .LBB5_145
; %bb.146:
	s_or_b32 exec_lo, exec_lo, s6
.LBB5_147:
	s_wait_alu 0xfffe
	s_or_b32 exec_lo, exec_lo, s5
.LBB5_148:
	s_wait_alu 0xfffe
	s_or_b32 exec_lo, exec_lo, s4
	v_readfirstlane_b32 s4, v1
	v_mov_b32_e32 v9, 0
	v_readfirstlane_b32 s5, v2
	s_mov_b32 s6, exec_lo
	s_wait_loadcnt 0x0
	s_clause 0x1
	global_load_b64 v[4:5], v9, s[2:3] offset:40
	global_load_b128 v[10:13], v9, s[2:3]
	s_wait_loadcnt 0x1
	s_wait_alu 0xf1ff
	v_and_b32_e32 v5, s5, v5
	v_and_b32_e32 v4, s4, v4
	s_delay_alu instid0(VALU_DEP_2) | instskip(NEXT) | instid1(VALU_DEP_2)
	v_mul_lo_u32 v1, 24, v5
	v_mul_lo_u32 v2, 0, v4
	v_mul_hi_u32 v8, 24, v4
	v_mul_lo_u32 v14, 24, v4
	s_delay_alu instid0(VALU_DEP_3) | instskip(NEXT) | instid1(VALU_DEP_1)
	v_add_nc_u32_e32 v1, v1, v2
	v_add_nc_u32_e32 v2, v1, v8
	s_wait_loadcnt 0x0
	s_delay_alu instid0(VALU_DEP_3) | instskip(SKIP_1) | instid1(VALU_DEP_2)
	v_add_co_u32 v1, vcc_lo, v10, v14
	s_wait_alu 0xfffd
	v_add_co_ci_u32_e64 v2, null, v11, v2, vcc_lo
	s_and_saveexec_b32 s7, s1
	s_cbranch_execz .LBB5_150
; %bb.149:
	s_wait_alu 0xfffe
	v_dual_mov_b32 v8, s6 :: v_dual_mov_b32 v17, 1
	v_dual_mov_b32 v16, 2 :: v_dual_mov_b32 v15, v9
	s_delay_alu instid0(VALU_DEP_2)
	v_mov_b32_e32 v14, v8
	global_store_b128 v[1:2], v[14:17], off offset:8
.LBB5_150:
	s_wait_alu 0xfffe
	s_or_b32 exec_lo, exec_lo, s7
	v_lshlrev_b64_e32 v[4:5], 12, v[4:5]
	s_mov_b32 s8, 0
	v_and_or_b32 v6, 0xffffff1f, v6, 32
	s_wait_alu 0xfffe
	s_mov_b32 s11, s8
	s_mov_b32 s9, s8
	;; [unrolled: 1-line block ×3, first 2 shown]
	v_add_co_u32 v4, vcc_lo, v12, v4
	s_wait_alu 0xfffd
	v_add_co_ci_u32_e64 v5, null, v13, v5, vcc_lo
	s_wait_alu 0xfffe
	v_dual_mov_b32 v8, v36 :: v_dual_mov_b32 v17, s11
	v_add_co_u32 v12, vcc_lo, v4, v34
	v_readfirstlane_b32 s6, v4
	v_readfirstlane_b32 s7, v5
	s_wait_alu 0xfffd
	v_add_co_ci_u32_e64 v13, null, 0, v5, vcc_lo
	v_dual_mov_b32 v16, s10 :: v_dual_mov_b32 v15, s9
	v_mov_b32_e32 v14, s8
	s_clause 0x3
	global_store_b128 v34, v[6:9], s[6:7]
	global_store_b128 v34, v[14:17], s[6:7] offset:16
	global_store_b128 v34, v[14:17], s[6:7] offset:32
	;; [unrolled: 1-line block ×3, first 2 shown]
	s_and_saveexec_b32 s6, s1
	s_cbranch_execz .LBB5_157
; %bb.151:
	v_mov_b32_e32 v14, 0
	s_mov_b32 s7, exec_lo
	s_clause 0x1
	global_load_b64 v[17:18], v14, s[2:3] offset:32 scope:SCOPE_SYS
	global_load_b64 v[4:5], v14, s[2:3] offset:40
	v_dual_mov_b32 v15, s4 :: v_dual_mov_b32 v16, s5
	s_wait_loadcnt 0x0
	v_and_b32_e32 v5, s5, v5
	v_and_b32_e32 v4, s4, v4
	s_delay_alu instid0(VALU_DEP_2) | instskip(NEXT) | instid1(VALU_DEP_2)
	v_mul_lo_u32 v5, 24, v5
	v_mul_lo_u32 v6, 0, v4
	v_mul_hi_u32 v7, 24, v4
	v_mul_lo_u32 v4, 24, v4
	s_delay_alu instid0(VALU_DEP_3) | instskip(NEXT) | instid1(VALU_DEP_2)
	v_add_nc_u32_e32 v5, v5, v6
	v_add_co_u32 v8, vcc_lo, v10, v4
	s_delay_alu instid0(VALU_DEP_2) | instskip(SKIP_1) | instid1(VALU_DEP_1)
	v_add_nc_u32_e32 v5, v5, v7
	s_wait_alu 0xfffd
	v_add_co_ci_u32_e64 v9, null, v11, v5, vcc_lo
	global_store_b64 v[8:9], v[17:18], off
	global_wb scope:SCOPE_SYS
	s_wait_storecnt 0x0
	global_atomic_cmpswap_b64 v[6:7], v14, v[15:18], s[2:3] offset:32 th:TH_ATOMIC_RETURN scope:SCOPE_SYS
	s_wait_loadcnt 0x0
	v_cmpx_ne_u64_e64 v[6:7], v[17:18]
	s_cbranch_execz .LBB5_153
.LBB5_152:                              ; =>This Inner Loop Header: Depth=1
	v_dual_mov_b32 v4, s4 :: v_dual_mov_b32 v5, s5
	s_sleep 1
	global_store_b64 v[8:9], v[6:7], off
	global_wb scope:SCOPE_SYS
	s_wait_storecnt 0x0
	global_atomic_cmpswap_b64 v[4:5], v14, v[4:7], s[2:3] offset:32 th:TH_ATOMIC_RETURN scope:SCOPE_SYS
	s_wait_loadcnt 0x0
	v_cmp_eq_u64_e32 vcc_lo, v[4:5], v[6:7]
	v_dual_mov_b32 v7, v5 :: v_dual_mov_b32 v6, v4
	s_or_b32 s8, vcc_lo, s8
	s_wait_alu 0xfffe
	s_and_not1_b32 exec_lo, exec_lo, s8
	s_cbranch_execnz .LBB5_152
.LBB5_153:
	s_wait_alu 0xfffe
	s_or_b32 exec_lo, exec_lo, s7
	v_mov_b32_e32 v7, 0
	s_mov_b32 s8, exec_lo
	s_mov_b32 s7, exec_lo
	s_wait_alu 0xfffe
	v_mbcnt_lo_u32_b32 v6, s8, 0
	global_load_b64 v[4:5], v7, s[2:3] offset:16
	v_cmpx_eq_u32_e32 0, v6
	s_cbranch_execz .LBB5_155
; %bb.154:
	s_bcnt1_i32_b32 s8, s8
	s_wait_alu 0xfffe
	v_mov_b32_e32 v6, s8
	global_wb scope:SCOPE_SYS
	s_wait_loadcnt 0x0
	s_wait_storecnt 0x0
	global_atomic_add_u64 v[4:5], v[6:7], off offset:8 scope:SCOPE_SYS
.LBB5_155:
	s_or_b32 exec_lo, exec_lo, s7
	s_wait_loadcnt 0x0
	global_load_b64 v[6:7], v[4:5], off offset:16
	s_wait_loadcnt 0x0
	v_cmp_eq_u64_e32 vcc_lo, 0, v[6:7]
	s_cbranch_vccnz .LBB5_157
; %bb.156:
	global_load_b32 v4, v[4:5], off offset:24
	v_mov_b32_e32 v5, 0
	s_wait_loadcnt 0x0
	v_readfirstlane_b32 s7, v4
	global_wb scope:SCOPE_SYS
	s_wait_storecnt 0x0
	global_store_b64 v[6:7], v[4:5], off scope:SCOPE_SYS
	s_and_b32 m0, s7, 0xffffff
	s_sendmsg sendmsg(MSG_INTERRUPT)
.LBB5_157:
	s_wait_alu 0xfffe
	s_or_b32 exec_lo, exec_lo, s6
	s_branch .LBB5_161
.LBB5_158:                              ;   in Loop: Header=BB5_161 Depth=1
	s_wait_alu 0xfffe
	s_or_b32 exec_lo, exec_lo, s6
	s_delay_alu instid0(VALU_DEP_1)
	v_readfirstlane_b32 s6, v4
	s_cmp_eq_u32 s6, 0
	s_cbranch_scc1 .LBB5_160
; %bb.159:                              ;   in Loop: Header=BB5_161 Depth=1
	s_sleep 1
	s_cbranch_execnz .LBB5_161
	s_branch .LBB5_163
.LBB5_160:
	s_branch .LBB5_163
.LBB5_161:                              ; =>This Inner Loop Header: Depth=1
	v_mov_b32_e32 v4, 1
	s_and_saveexec_b32 s6, s1
	s_cbranch_execz .LBB5_158
; %bb.162:                              ;   in Loop: Header=BB5_161 Depth=1
	global_load_b32 v4, v[1:2], off offset:20 scope:SCOPE_SYS
	s_wait_loadcnt 0x0
	global_inv scope:SCOPE_SYS
	v_and_b32_e32 v4, 1, v4
	s_branch .LBB5_158
.LBB5_163:
	global_load_b64 v[1:2], v[12:13], off
	s_and_saveexec_b32 s6, s1
	s_cbranch_execz .LBB5_167
; %bb.164:
	v_mov_b32_e32 v10, 0
	s_clause 0x2
	global_load_b64 v[4:5], v10, s[2:3] offset:40
	global_load_b64 v[13:14], v10, s[2:3] offset:24 scope:SCOPE_SYS
	global_load_b64 v[6:7], v10, s[2:3]
	s_wait_loadcnt 0x2
	v_readfirstlane_b32 s8, v4
	v_readfirstlane_b32 s9, v5
	s_add_nc_u64 s[10:11], s[8:9], 1
	s_wait_alu 0xfffe
	s_add_nc_u64 s[4:5], s[10:11], s[4:5]
	s_wait_alu 0xfffe
	s_cmp_eq_u64 s[4:5], 0
	s_cselect_b32 s5, s11, s5
	s_cselect_b32 s4, s10, s4
	s_wait_alu 0xfffe
	v_mov_b32_e32 v12, s5
	s_and_b64 s[8:9], s[4:5], s[8:9]
	v_mov_b32_e32 v11, s4
	s_wait_alu 0xfffe
	s_mul_u64 s[8:9], s[8:9], 24
	s_wait_loadcnt 0x0
	s_wait_alu 0xfffe
	v_add_co_u32 v8, vcc_lo, v6, s8
	s_wait_alu 0xfffd
	v_add_co_ci_u32_e64 v9, null, s9, v7, vcc_lo
	global_store_b64 v[8:9], v[13:14], off
	global_wb scope:SCOPE_SYS
	s_wait_storecnt 0x0
	global_atomic_cmpswap_b64 v[6:7], v10, v[11:14], s[2:3] offset:24 th:TH_ATOMIC_RETURN scope:SCOPE_SYS
	s_wait_loadcnt 0x0
	v_cmp_ne_u64_e32 vcc_lo, v[6:7], v[13:14]
	s_and_b32 exec_lo, exec_lo, vcc_lo
	s_cbranch_execz .LBB5_167
; %bb.165:
	s_mov_b32 s1, 0
.LBB5_166:                              ; =>This Inner Loop Header: Depth=1
	v_dual_mov_b32 v4, s4 :: v_dual_mov_b32 v5, s5
	s_sleep 1
	global_store_b64 v[8:9], v[6:7], off
	global_wb scope:SCOPE_SYS
	s_wait_storecnt 0x0
	global_atomic_cmpswap_b64 v[4:5], v10, v[4:7], s[2:3] offset:24 th:TH_ATOMIC_RETURN scope:SCOPE_SYS
	s_wait_loadcnt 0x0
	v_cmp_eq_u64_e32 vcc_lo, v[4:5], v[6:7]
	v_dual_mov_b32 v7, v5 :: v_dual_mov_b32 v6, v4
	s_wait_alu 0xfffe
	s_or_b32 s1, vcc_lo, s1
	s_wait_alu 0xfffe
	s_and_not1_b32 exec_lo, exec_lo, s1
	s_cbranch_execnz .LBB5_166
.LBB5_167:
	s_wait_alu 0xfffe
	s_or_b32 exec_lo, exec_lo, s6
	v_readfirstlane_b32 s1, v35
	v_mov_b32_e32 v9, 0
	v_mov_b32_e32 v10, 0
	s_wait_alu 0xf1ff
	s_delay_alu instid0(VALU_DEP_3)
	v_cmp_eq_u32_e64 s1, s1, v35
	s_and_saveexec_b32 s4, s1
	s_cbranch_execz .LBB5_173
; %bb.168:
	v_mov_b32_e32 v4, 0
	s_mov_b32 s5, exec_lo
	global_load_b64 v[7:8], v4, s[2:3] offset:24 scope:SCOPE_SYS
	s_wait_loadcnt 0x0
	global_inv scope:SCOPE_SYS
	s_clause 0x1
	global_load_b64 v[5:6], v4, s[2:3] offset:40
	global_load_b64 v[9:10], v4, s[2:3]
	s_wait_loadcnt 0x1
	v_and_b32_e32 v6, v6, v8
	v_and_b32_e32 v5, v5, v7
	s_delay_alu instid0(VALU_DEP_2) | instskip(NEXT) | instid1(VALU_DEP_2)
	v_mul_lo_u32 v6, 24, v6
	v_mul_lo_u32 v11, 0, v5
	v_mul_hi_u32 v12, 24, v5
	v_mul_lo_u32 v5, 24, v5
	s_delay_alu instid0(VALU_DEP_3) | instskip(SKIP_1) | instid1(VALU_DEP_2)
	v_add_nc_u32_e32 v6, v6, v11
	s_wait_loadcnt 0x0
	v_add_co_u32 v5, vcc_lo, v9, v5
	s_delay_alu instid0(VALU_DEP_2) | instskip(SKIP_1) | instid1(VALU_DEP_1)
	v_add_nc_u32_e32 v6, v6, v12
	s_wait_alu 0xfffd
	v_add_co_ci_u32_e64 v6, null, v10, v6, vcc_lo
	global_load_b64 v[5:6], v[5:6], off scope:SCOPE_SYS
	s_wait_loadcnt 0x0
	global_atomic_cmpswap_b64 v[9:10], v4, v[5:8], s[2:3] offset:24 th:TH_ATOMIC_RETURN scope:SCOPE_SYS
	s_wait_loadcnt 0x0
	global_inv scope:SCOPE_SYS
	v_cmpx_ne_u64_e64 v[9:10], v[7:8]
	s_cbranch_execz .LBB5_172
; %bb.169:
	s_mov_b32 s6, 0
.LBB5_170:                              ; =>This Inner Loop Header: Depth=1
	s_sleep 1
	s_clause 0x1
	global_load_b64 v[5:6], v4, s[2:3] offset:40
	global_load_b64 v[11:12], v4, s[2:3]
	v_dual_mov_b32 v7, v9 :: v_dual_mov_b32 v8, v10
	s_wait_loadcnt 0x1
	s_delay_alu instid0(VALU_DEP_1) | instskip(NEXT) | instid1(VALU_DEP_2)
	v_and_b32_e32 v5, v5, v7
	v_and_b32_e32 v6, v6, v8
	s_wait_loadcnt 0x0
	s_delay_alu instid0(VALU_DEP_2) | instskip(NEXT) | instid1(VALU_DEP_1)
	v_mad_co_u64_u32 v[9:10], null, v5, 24, v[11:12]
	v_mov_b32_e32 v5, v10
	s_delay_alu instid0(VALU_DEP_1) | instskip(NEXT) | instid1(VALU_DEP_1)
	v_mad_co_u64_u32 v[5:6], null, v6, 24, v[5:6]
	v_mov_b32_e32 v10, v5
	global_load_b64 v[5:6], v[9:10], off scope:SCOPE_SYS
	s_wait_loadcnt 0x0
	global_atomic_cmpswap_b64 v[9:10], v4, v[5:8], s[2:3] offset:24 th:TH_ATOMIC_RETURN scope:SCOPE_SYS
	s_wait_loadcnt 0x0
	global_inv scope:SCOPE_SYS
	v_cmp_eq_u64_e32 vcc_lo, v[9:10], v[7:8]
	s_wait_alu 0xfffe
	s_or_b32 s6, vcc_lo, s6
	s_wait_alu 0xfffe
	s_and_not1_b32 exec_lo, exec_lo, s6
	s_cbranch_execnz .LBB5_170
; %bb.171:
	s_or_b32 exec_lo, exec_lo, s6
.LBB5_172:
	s_wait_alu 0xfffe
	s_or_b32 exec_lo, exec_lo, s5
.LBB5_173:
	s_wait_alu 0xfffe
	s_or_b32 exec_lo, exec_lo, s4
	v_readfirstlane_b32 s4, v9
	v_mov_b32_e32 v4, 0
	v_readfirstlane_b32 s5, v10
	s_mov_b32 s6, exec_lo
	s_clause 0x1
	global_load_b64 v[11:12], v4, s[2:3] offset:40
	global_load_b128 v[5:8], v4, s[2:3]
	s_wait_loadcnt 0x1
	s_wait_alu 0xf1ff
	v_and_b32_e32 v12, s5, v12
	v_and_b32_e32 v11, s4, v11
	s_delay_alu instid0(VALU_DEP_2) | instskip(NEXT) | instid1(VALU_DEP_2)
	v_mul_lo_u32 v9, 24, v12
	v_mul_lo_u32 v10, 0, v11
	v_mul_hi_u32 v13, 24, v11
	v_mul_lo_u32 v14, 24, v11
	s_delay_alu instid0(VALU_DEP_3) | instskip(NEXT) | instid1(VALU_DEP_1)
	v_add_nc_u32_e32 v9, v9, v10
	v_add_nc_u32_e32 v10, v9, v13
	s_wait_loadcnt 0x0
	s_delay_alu instid0(VALU_DEP_3) | instskip(SKIP_1) | instid1(VALU_DEP_2)
	v_add_co_u32 v9, vcc_lo, v5, v14
	s_wait_alu 0xfffd
	v_add_co_ci_u32_e64 v10, null, v6, v10, vcc_lo
	s_and_saveexec_b32 s7, s1
	s_cbranch_execz .LBB5_175
; %bb.174:
	s_wait_alu 0xfffe
	v_dual_mov_b32 v13, s6 :: v_dual_mov_b32 v14, v4
	v_dual_mov_b32 v15, 2 :: v_dual_mov_b32 v16, 1
	global_store_b128 v[9:10], v[13:16], off offset:8
.LBB5_175:
	s_wait_alu 0xfffe
	s_or_b32 exec_lo, exec_lo, s7
	v_lshlrev_b64_e32 v[11:12], 12, v[11:12]
	s_mov_b32 s8, 0
	v_and_or_b32 v1, 0xffffff1d, v1, 34
	s_wait_alu 0xfffe
	s_mov_b32 s11, s8
	s_mov_b32 s9, s8
	;; [unrolled: 1-line block ×3, first 2 shown]
	v_add_co_u32 v7, vcc_lo, v7, v11
	s_wait_alu 0xfffd
	v_add_co_ci_u32_e64 v8, null, v8, v12, vcc_lo
	s_wait_alu 0xfffe
	v_dual_mov_b32 v14, s11 :: v_dual_mov_b32 v13, s10
	v_readfirstlane_b32 s6, v7
	s_delay_alu instid0(VALU_DEP_3)
	v_readfirstlane_b32 s7, v8
	v_dual_mov_b32 v12, s9 :: v_dual_mov_b32 v11, s8
	s_clause 0x3
	global_store_b128 v34, v[1:4], s[6:7]
	global_store_b128 v34, v[11:14], s[6:7] offset:16
	global_store_b128 v34, v[11:14], s[6:7] offset:32
	;; [unrolled: 1-line block ×3, first 2 shown]
	s_and_saveexec_b32 s6, s1
	s_cbranch_execz .LBB5_182
; %bb.176:
	v_mov_b32_e32 v7, 0
	s_mov_b32 s7, exec_lo
	s_clause 0x1
	global_load_b64 v[13:14], v7, s[2:3] offset:32 scope:SCOPE_SYS
	global_load_b64 v[1:2], v7, s[2:3] offset:40
	v_dual_mov_b32 v12, s5 :: v_dual_mov_b32 v11, s4
	s_wait_loadcnt 0x0
	v_and_b32_e32 v2, s5, v2
	v_and_b32_e32 v1, s4, v1
	s_delay_alu instid0(VALU_DEP_2) | instskip(NEXT) | instid1(VALU_DEP_2)
	v_mul_lo_u32 v2, 24, v2
	v_mul_lo_u32 v3, 0, v1
	v_mul_hi_u32 v4, 24, v1
	v_mul_lo_u32 v1, 24, v1
	s_delay_alu instid0(VALU_DEP_3) | instskip(NEXT) | instid1(VALU_DEP_2)
	v_add_nc_u32_e32 v2, v2, v3
	v_add_co_u32 v5, vcc_lo, v5, v1
	s_delay_alu instid0(VALU_DEP_2) | instskip(SKIP_1) | instid1(VALU_DEP_1)
	v_add_nc_u32_e32 v2, v2, v4
	s_wait_alu 0xfffd
	v_add_co_ci_u32_e64 v6, null, v6, v2, vcc_lo
	global_store_b64 v[5:6], v[13:14], off
	global_wb scope:SCOPE_SYS
	s_wait_storecnt 0x0
	global_atomic_cmpswap_b64 v[3:4], v7, v[11:14], s[2:3] offset:32 th:TH_ATOMIC_RETURN scope:SCOPE_SYS
	s_wait_loadcnt 0x0
	v_cmpx_ne_u64_e64 v[3:4], v[13:14]
	s_cbranch_execz .LBB5_178
.LBB5_177:                              ; =>This Inner Loop Header: Depth=1
	v_dual_mov_b32 v1, s4 :: v_dual_mov_b32 v2, s5
	s_sleep 1
	global_store_b64 v[5:6], v[3:4], off
	global_wb scope:SCOPE_SYS
	s_wait_storecnt 0x0
	global_atomic_cmpswap_b64 v[1:2], v7, v[1:4], s[2:3] offset:32 th:TH_ATOMIC_RETURN scope:SCOPE_SYS
	s_wait_loadcnt 0x0
	v_cmp_eq_u64_e32 vcc_lo, v[1:2], v[3:4]
	v_dual_mov_b32 v4, v2 :: v_dual_mov_b32 v3, v1
	s_or_b32 s8, vcc_lo, s8
	s_wait_alu 0xfffe
	s_and_not1_b32 exec_lo, exec_lo, s8
	s_cbranch_execnz .LBB5_177
.LBB5_178:
	s_wait_alu 0xfffe
	s_or_b32 exec_lo, exec_lo, s7
	v_mov_b32_e32 v4, 0
	s_mov_b32 s8, exec_lo
	s_mov_b32 s7, exec_lo
	s_wait_alu 0xfffe
	v_mbcnt_lo_u32_b32 v3, s8, 0
	global_load_b64 v[1:2], v4, s[2:3] offset:16
	v_cmpx_eq_u32_e32 0, v3
	s_cbranch_execz .LBB5_180
; %bb.179:
	s_bcnt1_i32_b32 s8, s8
	s_wait_alu 0xfffe
	v_mov_b32_e32 v3, s8
	global_wb scope:SCOPE_SYS
	s_wait_loadcnt 0x0
	s_wait_storecnt 0x0
	global_atomic_add_u64 v[1:2], v[3:4], off offset:8 scope:SCOPE_SYS
.LBB5_180:
	s_or_b32 exec_lo, exec_lo, s7
	s_wait_loadcnt 0x0
	global_load_b64 v[3:4], v[1:2], off offset:16
	s_wait_loadcnt 0x0
	v_cmp_eq_u64_e32 vcc_lo, 0, v[3:4]
	s_cbranch_vccnz .LBB5_182
; %bb.181:
	global_load_b32 v1, v[1:2], off offset:24
	v_mov_b32_e32 v2, 0
	s_wait_loadcnt 0x0
	v_readfirstlane_b32 s7, v1
	global_wb scope:SCOPE_SYS
	s_wait_storecnt 0x0
	global_store_b64 v[3:4], v[1:2], off scope:SCOPE_SYS
	s_and_b32 m0, s7, 0xffffff
	s_sendmsg sendmsg(MSG_INTERRUPT)
.LBB5_182:
	s_wait_alu 0xfffe
	s_or_b32 exec_lo, exec_lo, s6
	s_branch .LBB5_186
.LBB5_183:                              ;   in Loop: Header=BB5_186 Depth=1
	s_wait_alu 0xfffe
	s_or_b32 exec_lo, exec_lo, s6
	s_delay_alu instid0(VALU_DEP_1)
	v_readfirstlane_b32 s6, v1
	s_cmp_eq_u32 s6, 0
	s_cbranch_scc1 .LBB5_185
; %bb.184:                              ;   in Loop: Header=BB5_186 Depth=1
	s_sleep 1
	s_cbranch_execnz .LBB5_186
	s_branch .LBB5_188
.LBB5_185:
	s_branch .LBB5_188
.LBB5_186:                              ; =>This Inner Loop Header: Depth=1
	v_mov_b32_e32 v1, 1
	s_and_saveexec_b32 s6, s1
	s_cbranch_execz .LBB5_183
; %bb.187:                              ;   in Loop: Header=BB5_186 Depth=1
	global_load_b32 v1, v[9:10], off offset:20 scope:SCOPE_SYS
	s_wait_loadcnt 0x0
	global_inv scope:SCOPE_SYS
	v_and_b32_e32 v1, 1, v1
	s_branch .LBB5_183
.LBB5_188:
	s_and_b32 exec_lo, exec_lo, s1
	s_cbranch_execz .LBB5_192
; %bb.189:
	v_mov_b32_e32 v7, 0
	s_clause 0x2
	global_load_b64 v[1:2], v7, s[2:3] offset:40
	global_load_b64 v[10:11], v7, s[2:3] offset:24 scope:SCOPE_SYS
	global_load_b64 v[3:4], v7, s[2:3]
	s_wait_loadcnt 0x2
	v_readfirstlane_b32 s6, v1
	v_readfirstlane_b32 s7, v2
	s_add_nc_u64 s[8:9], s[6:7], 1
	s_wait_alu 0xfffe
	s_add_nc_u64 s[4:5], s[8:9], s[4:5]
	s_wait_alu 0xfffe
	s_cmp_eq_u64 s[4:5], 0
	s_cselect_b32 s5, s9, s5
	s_cselect_b32 s4, s8, s4
	s_wait_alu 0xfffe
	v_mov_b32_e32 v9, s5
	s_and_b64 s[6:7], s[4:5], s[6:7]
	v_mov_b32_e32 v8, s4
	s_wait_alu 0xfffe
	s_mul_u64 s[6:7], s[6:7], 24
	s_wait_loadcnt 0x0
	s_wait_alu 0xfffe
	v_add_co_u32 v5, vcc_lo, v3, s6
	s_wait_alu 0xfffd
	v_add_co_ci_u32_e64 v6, null, s7, v4, vcc_lo
	global_store_b64 v[5:6], v[10:11], off
	global_wb scope:SCOPE_SYS
	s_wait_storecnt 0x0
	global_atomic_cmpswap_b64 v[3:4], v7, v[8:11], s[2:3] offset:24 th:TH_ATOMIC_RETURN scope:SCOPE_SYS
	s_wait_loadcnt 0x0
	v_cmp_ne_u64_e32 vcc_lo, v[3:4], v[10:11]
	s_and_b32 exec_lo, exec_lo, vcc_lo
	s_cbranch_execz .LBB5_192
; %bb.190:
	s_mov_b32 s1, 0
.LBB5_191:                              ; =>This Inner Loop Header: Depth=1
	v_dual_mov_b32 v1, s4 :: v_dual_mov_b32 v2, s5
	s_sleep 1
	global_store_b64 v[5:6], v[3:4], off
	global_wb scope:SCOPE_SYS
	s_wait_storecnt 0x0
	global_atomic_cmpswap_b64 v[1:2], v7, v[1:4], s[2:3] offset:24 th:TH_ATOMIC_RETURN scope:SCOPE_SYS
	s_wait_loadcnt 0x0
	v_cmp_eq_u64_e32 vcc_lo, v[1:2], v[3:4]
	v_dual_mov_b32 v4, v2 :: v_dual_mov_b32 v3, v1
	s_wait_alu 0xfffe
	s_or_b32 s1, vcc_lo, s1
	s_wait_alu 0xfffe
	s_and_not1_b32 exec_lo, exec_lo, s1
	s_cbranch_execnz .LBB5_191
.LBB5_192:
	s_wait_alu 0xfffe
	s_or_b32 exec_lo, exec_lo, s16
	v_or_b32_e32 v0, v0, v44
	s_xor_b32 s0, s0, -1
                                        ; implicit-def: $vgpr54
	s_delay_alu instid0(VALU_DEP_1)
	v_cmp_lt_i32_e32 vcc_lo, -1, v0
	s_wait_alu 0xfffe
	s_and_b32 s0, vcc_lo, s0
	s_wait_alu 0xfffe
	s_and_saveexec_b32 s1, s0
	s_wait_alu 0xfffe
	s_xor_b32 s0, exec_lo, s1
	s_cbranch_execz .LBB5_194
; %bb.193:
	flat_load_b32 v0, v[40:41]
	v_lshl_or_b32 v29, v33, 1, 1
	s_wait_loadcnt_dscnt 0x0
	v_ashrrev_i32_e32 v1, 31, v0
	v_add_nc_u32_e32 v3, 1, v0
	v_lshl_or_b32 v54, v0, 1, 1
	s_delay_alu instid0(VALU_DEP_3) | instskip(NEXT) | instid1(VALU_DEP_1)
	v_lshlrev_b64_e32 v[1:2], 3, v[0:1]
	v_add_co_u32 v1, vcc_lo, v40, v1
	s_wait_alu 0xfffd
	s_delay_alu instid0(VALU_DEP_2)
	v_add_co_ci_u32_e64 v2, null, v41, v2, vcc_lo
	s_clause 0x1
	flat_store_b32 v[40:41], v3
	flat_store_b64 v[1:2], v[29:30] offset:8
.LBB5_194:
	s_wait_alu 0xfffe
	s_or_saveexec_b32 s19, s0
	s_mov_b32 s0, s17
	s_wait_alu 0xfffe
	s_xor_b32 exec_lo, exec_lo, s19
	s_cbranch_execz .LBB5_196
; %bb.195:
	s_getpc_b64 s[0:1]
	s_wait_alu 0xfffe
	s_sext_i32_i16 s1, s1
	s_add_co_u32 s0, s0, .str.46@rel32@lo+12
	s_wait_alu 0xfffe
	s_add_co_ci_u32 s1, s1, .str.46@rel32@hi+24
	s_getpc_b64 s[2:3]
	s_wait_alu 0xfffe
	s_sext_i32_i16 s3, s3
	s_add_co_u32 s2, s2, .str.44@rel32@lo+12
	s_wait_alu 0xfffe
	s_add_co_ci_u32 s3, s3, .str.44@rel32@hi+24
	s_getpc_b64 s[4:5]
	s_wait_alu 0xfffe
	s_sext_i32_i16 s5, s5
	s_add_co_u32 s4, s4, __PRETTY_FUNCTION__._ZN8subgUtil18formAndNodeKeyFlagEiii@rel32@lo+12
	s_wait_alu 0xfffe
	s_add_co_ci_u32 s5, s5, __PRETTY_FUNCTION__._ZN8subgUtil18formAndNodeKeyFlagEiii@rel32@hi+24
	v_dual_mov_b32 v0, s0 :: v_dual_mov_b32 v1, s1
	v_dual_mov_b32 v2, s2 :: v_dual_mov_b32 v3, s3
	;; [unrolled: 1-line block ×3, first 2 shown]
	s_wait_alu 0xfffe
	v_mov_b32_e32 v6, s5
	s_getpc_b64 s[6:7]
	s_wait_alu 0xfffe
	s_sext_i32_i16 s7, s7
	s_add_co_u32 s6, s6, __assert_fail@rel32@lo+12
	s_wait_alu 0xfffe
	s_add_co_ci_u32 s7, s7, __assert_fail@rel32@hi+24
	s_mov_b64 s[8:9], s[34:35]
	s_wait_alu 0xfffe
	s_swappc_b64 s[30:31], s[6:7]
	s_or_b32 s0, s17, exec_lo
.LBB5_196:
	s_or_b32 exec_lo, exec_lo, s19
	s_delay_alu instid0(SALU_CYCLE_1)
	s_and_not1_b32 s1, s17, exec_lo
	s_wait_alu 0xfffe
	s_and_b32 s0, s0, exec_lo
	s_wait_alu 0xfffe
	s_or_b32 s17, s1, s0
	s_or_b32 exec_lo, exec_lo, s18
	s_wait_alu 0xfffe
	s_and_saveexec_b32 s0, s17
	s_cbranch_execnz .LBB5_4
	s_branch .LBB5_5
.Lfunc_end5:
	.size	_ZN3sop19sopFactorTrivialRecEPjiiPN8subgUtil4SubgILi256EEE, .Lfunc_end5-_ZN3sop19sopFactorTrivialRecEPjiiPN8subgUtil4SubgILi256EEE
                                        ; -- End function
	.set .L_ZN3sop19sopFactorTrivialRecEPjiiPN8subgUtil4SubgILi256EEE.num_vgpr, max(58, .L_ZN3sop23sopFactorTrivialCubeRecEjiiPN8subgUtil4SubgILi256EEE.num_vgpr, .L__assert_fail.num_vgpr)
	.set .L_ZN3sop19sopFactorTrivialRecEPjiiPN8subgUtil4SubgILi256EEE.num_agpr, max(0, .L_ZN3sop23sopFactorTrivialCubeRecEjiiPN8subgUtil4SubgILi256EEE.num_agpr, .L__assert_fail.num_agpr)
	.set .L_ZN3sop19sopFactorTrivialRecEPjiiPN8subgUtil4SubgILi256EEE.numbered_sgpr, max(52, .L_ZN3sop23sopFactorTrivialCubeRecEjiiPN8subgUtil4SubgILi256EEE.numbered_sgpr, .L__assert_fail.numbered_sgpr)
	.set .L_ZN3sop19sopFactorTrivialRecEPjiiPN8subgUtil4SubgILi256EEE.num_named_barrier, max(0, .L_ZN3sop23sopFactorTrivialCubeRecEjiiPN8subgUtil4SubgILi256EEE.num_named_barrier, .L__assert_fail.num_named_barrier)
	.set .L_ZN3sop19sopFactorTrivialRecEPjiiPN8subgUtil4SubgILi256EEE.private_seg_size, 48+max(.L_ZN3sop23sopFactorTrivialCubeRecEjiiPN8subgUtil4SubgILi256EEE.private_seg_size, .L__assert_fail.private_seg_size)
	.set .L_ZN3sop19sopFactorTrivialRecEPjiiPN8subgUtil4SubgILi256EEE.uses_vcc, or(1, .L_ZN3sop23sopFactorTrivialCubeRecEjiiPN8subgUtil4SubgILi256EEE.uses_vcc, .L__assert_fail.uses_vcc)
	.set .L_ZN3sop19sopFactorTrivialRecEPjiiPN8subgUtil4SubgILi256EEE.uses_flat_scratch, or(1, .L_ZN3sop23sopFactorTrivialCubeRecEjiiPN8subgUtil4SubgILi256EEE.uses_flat_scratch, .L__assert_fail.uses_flat_scratch)
	.set .L_ZN3sop19sopFactorTrivialRecEPjiiPN8subgUtil4SubgILi256EEE.has_dyn_sized_stack, or(0, .L_ZN3sop23sopFactorTrivialCubeRecEjiiPN8subgUtil4SubgILi256EEE.has_dyn_sized_stack, .L__assert_fail.has_dyn_sized_stack)
	.set .L_ZN3sop19sopFactorTrivialRecEPjiiPN8subgUtil4SubgILi256EEE.has_recursion, or(1, .L_ZN3sop23sopFactorTrivialCubeRecEjiiPN8subgUtil4SubgILi256EEE.has_recursion, .L__assert_fail.has_recursion)
	.set .L_ZN3sop19sopFactorTrivialRecEPjiiPN8subgUtil4SubgILi256EEE.has_indirect_call, or(0, .L_ZN3sop23sopFactorTrivialCubeRecEjiiPN8subgUtil4SubgILi256EEE.has_indirect_call, .L__assert_fail.has_indirect_call)
	.section	.AMDGPU.csdata,"",@progbits
; Function info:
; codeLenInByte = 10944
; TotalNumSgprs: 54
; NumVgprs: 58
; ScratchSize: 144
; MemoryBound: 0
	.text
	.p2align	2                               ; -- Begin function _ZN3sop12sopFactorRecEPNS_3SopEiP7VecsMemIjLi8192EEPN8subgUtil4SubgILi256EEE
	.type	_ZN3sop12sopFactorRecEPNS_3SopEiP7VecsMemIjLi8192EEPN8subgUtil4SubgILi256EEE,@function
_ZN3sop12sopFactorRecEPNS_3SopEiP7VecsMemIjLi8192EEPN8subgUtil4SubgILi256EEE: ; @_ZN3sop12sopFactorRecEPNS_3SopEiP7VecsMemIjLi8192EEPN8subgUtil4SubgILi256EEE
; %bb.0:
	s_wait_loadcnt_dscnt 0x0
	s_wait_expcnt 0x0
	s_wait_samplecnt 0x0
	s_wait_bvhcnt 0x0
	s_wait_kmcnt 0x0
	s_mov_b32 s0, s33
	s_mov_b32 s33, s32
	s_or_saveexec_b32 s1, -1
	s_clause 0x1
	scratch_store_b32 off, v58, s33 offset:152
	; meta instruction
	scratch_store_b32 off, v59, s33 offset:156
	s_wait_alu 0xfffe
	s_mov_b32 exec_lo, s1
	v_writelane_b32 v58, s0, 26
	s_addk_co_i32 s32, 0xb0
	s_clause 0x9
	scratch_store_b32 off, v40, s33 offset:36
	; meta instruction
	scratch_store_b32 off, v41, s33 offset:32
	; meta instruction
	scratch_store_b32 off, v42, s33 offset:28
	; meta instruction
	scratch_store_b32 off, v43, s33 offset:24
	; meta instruction
	scratch_store_b32 off, v44, s33 offset:20
	; meta instruction
	scratch_store_b32 off, v45, s33 offset:16
	; meta instruction
	scratch_store_b32 off, v46, s33 offset:12
	; meta instruction
	scratch_store_b32 off, v47, s33 offset:8
	; meta instruction
	scratch_store_b32 off, v56, s33 offset:4
	; meta instruction
	scratch_store_b32 off, v57, s33
	v_writelane_b32 v58, s34, 0
	v_writelane_b32 v58, s35, 1
	v_writelane_b32 v58, s36, 2
	v_writelane_b32 v58, s37, 3
	v_writelane_b32 v58, s38, 4
	v_writelane_b32 v58, s39, 5
	v_writelane_b32 v58, s48, 6
	v_writelane_b32 v58, s49, 7
	v_writelane_b32 v58, s50, 8
	v_writelane_b32 v58, s51, 9
	v_writelane_b32 v58, s52, 10
	v_writelane_b32 v58, s53, 11
	v_writelane_b32 v58, s54, 12
	v_writelane_b32 v58, s55, 13
	v_writelane_b32 v58, s64, 14
	v_writelane_b32 v58, s65, 15
	v_writelane_b32 v58, s66, 16
	v_writelane_b32 v58, s67, 17
	v_writelane_b32 v58, s68, 18
	v_writelane_b32 v58, s69, 19
	v_writelane_b32 v58, s70, 20
	v_writelane_b32 v58, s71, 21
	v_writelane_b32 v58, s80, 22
	v_writelane_b32 v58, s81, 23
	v_writelane_b32 v58, s30, 24
	v_writelane_b32 v58, s31, 25
	v_dual_mov_b32 v43, v6 :: v_dual_mov_b32 v54, v0
	v_dual_mov_b32 v55, v1 :: v_dual_mov_b32 v42, v5
	;; [unrolled: 1-line block ×3, first 2 shown]
	v_mov_b32_e32 v47, v2
	flat_load_b32 v0, v[54:55] offset:4
	s_mov_b64 s[52:53], s[8:9]
	s_mov_b32 s54, 0
	s_mov_b32 s0, exec_lo
	s_wait_loadcnt_dscnt 0x0
	v_cmpx_gt_i32_e32 1, v0
	s_wait_alu 0xfffe
	s_xor_b32 s17, exec_lo, s0
	s_cbranch_execnz .LBB6_5
; %bb.1:
	s_wait_alu 0xfffe
	s_or_saveexec_b32 s55, s17
                                        ; implicit-def: $vgpr41
	s_wait_alu 0xfffe
	s_xor_b32 exec_lo, exec_lo, s55
	s_cbranch_execnz .LBB6_6
.LBB6_2:
	s_or_b32 exec_lo, exec_lo, s55
	s_and_saveexec_b32 s0, s54
.LBB6_3:
	; divergent unreachable
.LBB6_4:
	s_wait_alu 0xfffe
	s_or_b32 exec_lo, exec_lo, s0
	v_mov_b32_e32 v0, v41
	scratch_load_b32 v57, off, s33          ; 4-byte Folded Reload
	s_wait_loadcnt_dscnt 0x100
	s_clause 0x8
	scratch_load_b32 v56, off, s33 offset:4
	scratch_load_b32 v47, off, s33 offset:8
	;; [unrolled: 1-line block ×9, first 2 shown]
	v_readlane_b32 s30, v58, 24
	v_readlane_b32 s31, v58, 25
	;; [unrolled: 1-line block ×26, first 2 shown]
	s_mov_b32 s32, s33
	v_readlane_b32 s0, v58, 26
	s_or_saveexec_b32 s1, -1
	s_clause 0x1
	scratch_load_b32 v58, off, s33 offset:152
	scratch_load_b32 v59, off, s33 offset:156
	s_wait_alu 0xfffe
	s_mov_b32 exec_lo, s1
	s_mov_b32 s33, s0
	s_wait_loadcnt 0x0
	s_wait_kmcnt 0x0
	s_wait_alu 0xfffc
	s_setpc_b64 s[30:31]
.LBB6_5:
	s_getpc_b64 s[0:1]
	s_wait_alu 0xfffe
	s_sext_i32_i16 s1, s1
	s_add_co_u32 s0, s0, .str.33@rel32@lo+12
	s_wait_alu 0xfffe
	s_add_co_ci_u32 s1, s1, .str.33@rel32@hi+24
	s_getpc_b64 s[2:3]
	s_wait_alu 0xfffe
	s_sext_i32_i16 s3, s3
	s_add_co_u32 s2, s2, .str.31@rel32@lo+12
	s_wait_alu 0xfffe
	s_add_co_ci_u32 s3, s3, .str.31@rel32@hi+24
	s_getpc_b64 s[4:5]
	s_wait_alu 0xfffe
	s_sext_i32_i16 s5, s5
	s_add_co_u32 s4, s4, __PRETTY_FUNCTION__._ZN3sop12sopFactorRecEPNS_3SopEiP7VecsMemIjLi8192EEPN8subgUtil4SubgILi256EEE@rel32@lo+12
	s_wait_alu 0xfffe
	s_add_co_ci_u32 s5, s5, __PRETTY_FUNCTION__._ZN3sop12sopFactorRecEPNS_3SopEiP7VecsMemIjLi8192EEPN8subgUtil4SubgILi256EEE@rel32@hi+24
	v_dual_mov_b32 v0, s0 :: v_dual_mov_b32 v1, s1
	v_dual_mov_b32 v2, s2 :: v_dual_mov_b32 v3, s3
	;; [unrolled: 1-line block ×3, first 2 shown]
	s_wait_alu 0xfffe
	v_mov_b32_e32 v6, s5
	s_getpc_b64 s[6:7]
	s_wait_alu 0xfffe
	s_sext_i32_i16 s7, s7
	s_add_co_u32 s6, s6, __assert_fail@rel32@lo+12
	s_wait_alu 0xfffe
	s_add_co_ci_u32 s7, s7, __assert_fail@rel32@hi+24
	s_mov_b64 s[8:9], s[52:53]
	s_wait_alu 0xfffe
	s_swappc_b64 s[30:31], s[6:7]
	s_mov_b32 s54, exec_lo
                                        ; implicit-def: $vgpr44
                                        ; implicit-def: $vgpr0
                                        ; implicit-def: $vgpr47
                                        ; implicit-def: $vgpr54_vgpr55
                                        ; implicit-def: $vgpr42
	s_or_saveexec_b32 s55, s17
                                        ; implicit-def: $vgpr41
	s_wait_alu 0xfffe
	s_xor_b32 exec_lo, exec_lo, s55
	s_cbranch_execz .LBB6_2
.LBB6_6:
	v_cmp_ne_u32_e32 vcc_lo, 1, v0
	v_cmp_lt_i32_e64 s28, 0, v47
	s_mov_b32 s65, 0
	s_mov_b32 s1, -1
	s_mov_b32 s64, s54
	s_mov_b32 s0, -1
	s_and_b32 s2, s28, vcc_lo
                                        ; implicit-def: $vgpr80
                                        ; implicit-def: $vgpr70_vgpr71
	s_wait_alu 0xfffe
	s_and_saveexec_b32 s17, s2
	s_cbranch_execz .LBB6_45
; %bb.7:
	flat_load_b64 v[3:4], v[54:55] offset:8
	s_mov_b32 s2, 0
	s_mov_b32 s3, 0
                                        ; implicit-def: $sgpr1
                                        ; implicit-def: $sgpr4
	s_branch .LBB6_9
.LBB6_8:                                ;   in Loop: Header=BB6_9 Depth=1
	s_wait_alu 0xfffe
	s_or_b32 exec_lo, exec_lo, s5
	s_delay_alu instid0(SALU_CYCLE_1)
	s_and_b32 s0, exec_lo, s0
	s_wait_alu 0xfffe
	s_or_b32 s2, s0, s2
	s_and_not1_b32 s0, s1, exec_lo
	s_and_b32 s1, s4, exec_lo
	s_wait_alu 0xfffe
	s_or_b32 s1, s0, s1
	s_and_not1_b32 exec_lo, exec_lo, s2
	s_cbranch_execz .LBB6_13
.LBB6_9:                                ; =>This Loop Header: Depth=1
                                        ;     Child Loop BB6_10 Depth 2
	s_wait_loadcnt_dscnt 0x0
	v_dual_mov_b32 v1, v3 :: v_dual_mov_b32 v6, v0
	v_dual_mov_b32 v5, 0 :: v_dual_mov_b32 v2, v4
	s_mov_b32 s5, 0
.LBB6_10:                               ;   Parent Loop BB6_9 Depth=1
                                        ; =>  This Inner Loop Header: Depth=2
	flat_load_b32 v7, v[1:2]
	v_add_nc_u32_e32 v6, -1, v6
	v_add_co_u32 v1, vcc_lo, v1, 4
	s_wait_alu 0xfffd
	v_add_co_ci_u32_e64 v2, null, 0, v2, vcc_lo
	s_delay_alu instid0(VALU_DEP_3) | instskip(SKIP_4) | instid1(VALU_DEP_1)
	v_cmp_eq_u32_e64 s0, 0, v6
	s_wait_alu 0xfffe
	s_or_b32 s5, s0, s5
	s_wait_loadcnt_dscnt 0x0
	v_bfe_u32 v7, v7, s3, 1
	v_add_nc_u32_e32 v5, v7, v5
	s_wait_alu 0xfffe
	s_and_not1_b32 exec_lo, exec_lo, s5
	s_cbranch_execnz .LBB6_10
; %bb.11:                               ;   in Loop: Header=BB6_9 Depth=1
	s_or_b32 exec_lo, exec_lo, s5
	s_mov_b32 s0, -1
	s_or_b32 s4, s4, exec_lo
	s_mov_b32 s5, exec_lo
	v_cmpx_gt_u32_e32 2, v5
	s_cbranch_execz .LBB6_8
; %bb.12:                               ;   in Loop: Header=BB6_9 Depth=1
	s_add_co_i32 s3, s3, 1
	s_wait_alu 0xfffe
	s_and_not1_b32 s4, s4, exec_lo
	v_cmp_eq_u32_e32 vcc_lo, s3, v47
	s_or_not1_b32 s0, vcc_lo, exec_lo
	s_branch .LBB6_8
.LBB6_13:
	s_or_b32 exec_lo, exec_lo, s2
	s_mov_b32 s2, 0
	s_mov_b32 s3, -1
	s_mov_b32 s5, s54
	s_mov_b32 s4, -1
                                        ; implicit-def: $vgpr80
                                        ; implicit-def: $vgpr70_vgpr71
	s_wait_alu 0xfffe
	s_and_saveexec_b32 s0, s1
	s_wait_alu 0xfffe
	s_xor_b32 s18, exec_lo, s0
	s_cbranch_execz .LBB6_44
; %bb.14:
	flat_load_b32 v1, v[44:45]
	s_mov_b32 s0, 0
	s_mov_b32 s1, -1
	s_mov_b32 s2, s54
	s_mov_b32 s19, exec_lo
                                        ; implicit-def: $vgpr80
                                        ; implicit-def: $vgpr70_vgpr71
	s_wait_loadcnt_dscnt 0x0
	v_add_nc_u32_e32 v5, v1, v0
	v_mov_b32_e32 v1, 0
	scratch_store_b32 off, v1, s33 offset:108
	v_cmpx_gt_i32_e32 0x2001, v5
	s_cbranch_execz .LBB6_43
; %bb.15:
	v_ashrrev_i32_e32 v6, 31, v5
	v_lshlrev_b64_e32 v[0:1], 2, v[0:1]
	flat_store_b32 v[44:45], v5
	s_mov_b32 s1, 0
	s_mov_b32 s2, 0
	v_lshlrev_b64_e32 v[6:7], 2, v[5:6]
	s_delay_alu instid0(VALU_DEP_1) | instskip(SKIP_1) | instid1(VALU_DEP_2)
	v_sub_co_u32 v2, vcc_lo, v6, v0
	s_wait_alu 0xfffd
	v_sub_co_ci_u32_e64 v8, null, v7, v1, vcc_lo
	v_add_co_u32 v6, vcc_lo, v44, v6
	s_wait_alu 0xfffd
	v_add_co_ci_u32_e64 v7, null, v45, v7, vcc_lo
	v_add_co_u32 v2, vcc_lo, v44, v2
	s_wait_alu 0xfffd
	v_add_co_ci_u32_e64 v10, null, v45, v8, vcc_lo
	v_sub_co_u32 v8, vcc_lo, v6, v0
	s_wait_alu 0xfffd
	v_sub_co_ci_u32_e64 v9, null, v7, v1, vcc_lo
	v_add_co_u32 v0, vcc_lo, v2, 4
	s_wait_alu 0xfffd
	v_add_co_ci_u32_e64 v1, null, 0, v10, vcc_lo
	v_add_co_u32 v70, vcc_lo, v8, 4
	s_wait_alu 0xfffd
	v_add_co_ci_u32_e64 v71, null, 0, v9, vcc_lo
	s_delay_alu instid0(VALU_DEP_3)
	v_dual_mov_b32 v7, v1 :: v_dual_mov_b32 v6, v0
	scratch_store_b64 off, v[70:71], s33 offset:112
.LBB6_16:                               ; =>This Inner Loop Header: Depth=1
	flat_load_b32 v2, v[3:4]
	s_wait_alu 0xfffe
	s_add_co_i32 s2, s2, 1
	v_add_co_u32 v3, vcc_lo, v3, 4
	s_wait_alu 0xfffd
	v_add_co_ci_u32_e64 v4, null, 0, v4, vcc_lo
	s_wait_loadcnt_dscnt 0x0
	flat_store_b32 v[6:7], v2
	flat_load_b32 v5, v[54:55] offset:4
	v_add_co_u32 v6, s0, v6, 4
	s_wait_alu 0xfffe
	v_mov_b32_e32 v2, s2
	s_wait_alu 0xf1ff
	v_add_co_ci_u32_e64 v7, null, 0, v7, s0
	s_wait_loadcnt_dscnt 0x0
	v_cmp_ge_i32_e32 vcc_lo, s2, v5
	s_or_b32 s1, vcc_lo, s1
	s_wait_alu 0xfffe
	s_and_not1_b32 exec_lo, exec_lo, s1
	s_cbranch_execnz .LBB6_16
; %bb.17:
	s_or_b32 exec_lo, exec_lo, s1
	s_mov_b32 s4, 0
                                        ; implicit-def: $sgpr3
	s_branch .LBB6_20
.LBB6_18:                               ;   in Loop: Header=BB6_20 Depth=1
	s_wait_alu 0xfffe
	s_or_b32 exec_lo, exec_lo, s2
	s_delay_alu instid0(SALU_CYCLE_1)
	s_xor_b32 s1, exec_lo, -1
.LBB6_19:                               ;   in Loop: Header=BB6_20 Depth=1
	s_wait_alu 0xfffe
	s_or_b32 exec_lo, exec_lo, s5
	s_delay_alu instid0(SALU_CYCLE_1)
	s_and_b32 s0, exec_lo, s1
	s_wait_alu 0xfffe
	s_or_b32 s4, s0, s4
	s_and_not1_b32 s0, s3, exec_lo
	s_and_b32 s1, vcc_lo, exec_lo
	s_wait_alu 0xfffe
	s_or_b32 s3, s0, s1
	s_and_not1_b32 exec_lo, exec_lo, s4
	s_cbranch_execz .LBB6_40
.LBB6_20:                               ; =>This Loop Header: Depth=1
                                        ;     Child Loop BB6_22 Depth 2
                                        ;       Child Loop BB6_24 Depth 3
                                        ;     Child Loop BB6_30 Depth 2
                                        ;     Child Loop BB6_35 Depth 2
	;; [unrolled: 1-line block ×3, first 2 shown]
	v_dual_mov_b32 v80, v2 :: v_dual_mov_b32 v5, 0xf4240
	v_mov_b32_e32 v4, -1
	s_mov_b32 s5, 0
	s_mov_b32 s6, 0
	s_delay_alu instid0(VALU_DEP_2)
	v_cmp_lt_i32_e64 s0, 0, v80
	v_cmp_gt_i32_e32 vcc_lo, 1, v80
	s_branch .LBB6_22
.LBB6_21:                               ;   in Loop: Header=BB6_22 Depth=2
	s_wait_alu 0xfffe
	s_or_b32 exec_lo, exec_lo, s7
	v_cmp_lt_u32_e64 s1, 1, v6
	v_cmp_gt_i32_e64 s2, v5, v6
	s_and_b32 s1, s1, s2
	s_wait_alu 0xfffe
	v_cndmask_b32_e64 v4, v4, s6, s1
	s_add_co_i32 s6, s6, 1
	v_cndmask_b32_e64 v5, v5, v6, s1
	s_wait_alu 0xfffe
	v_cmp_eq_u32_e64 s2, s6, v47
	s_or_b32 s5, s2, s5
	s_wait_alu 0xfffe
	s_and_not1_b32 exec_lo, exec_lo, s5
	s_cbranch_execz .LBB6_26
.LBB6_22:                               ;   Parent Loop BB6_20 Depth=1
                                        ; =>  This Loop Header: Depth=2
                                        ;       Child Loop BB6_24 Depth 3
	v_mov_b32_e32 v6, 0
	s_delay_alu instid0(VALU_DEP_3)
	s_and_saveexec_b32 s7, s0
	s_cbranch_execz .LBB6_21
; %bb.23:                               ;   in Loop: Header=BB6_22 Depth=2
	v_dual_mov_b32 v6, 0 :: v_dual_mov_b32 v3, v1
	v_dual_mov_b32 v2, v0 :: v_dual_mov_b32 v7, v80
	s_mov_b32 s8, 0
.LBB6_24:                               ;   Parent Loop BB6_20 Depth=1
                                        ;     Parent Loop BB6_22 Depth=2
                                        ; =>    This Inner Loop Header: Depth=3
	flat_load_b32 v10, v[2:3]
	v_add_nc_u32_e32 v7, -1, v7
	v_add_co_u32 v2, s1, v2, 4
	s_wait_alu 0xf1ff
	v_add_co_ci_u32_e64 v3, null, 0, v3, s1
	s_delay_alu instid0(VALU_DEP_3) | instskip(SKIP_4) | instid1(VALU_DEP_1)
	v_cmp_eq_u32_e64 s2, 0, v7
	s_wait_alu 0xfffe
	s_or_b32 s8, s2, s8
	s_wait_loadcnt_dscnt 0x0
	v_bfe_u32 v10, v10, s6, 1
	v_add_nc_u32_e32 v6, v10, v6
	s_wait_alu 0xfffe
	s_and_not1_b32 exec_lo, exec_lo, s8
	s_cbranch_execnz .LBB6_24
; %bb.25:                               ;   in Loop: Header=BB6_22 Depth=2
	s_or_b32 exec_lo, exec_lo, s8
	s_branch .LBB6_21
.LBB6_26:                               ;   in Loop: Header=BB6_20 Depth=1
	s_or_b32 exec_lo, exec_lo, s5
	v_cmp_gt_i32_e64 s1, 0xf4240, v5
	v_cmp_ne_u32_e64 s2, -1, v4
                                        ; implicit-def: $vgpr2
	s_and_b32 s2, s1, s2
	s_mov_b32 s1, -1
	s_wait_alu 0xfffe
	s_and_saveexec_b32 s5, s2
	s_cbranch_execz .LBB6_19
; %bb.27:                               ;   in Loop: Header=BB6_20 Depth=1
	v_mov_b32_e32 v2, 0
	s_and_saveexec_b32 s2, s0
	s_cbranch_execz .LBB6_33
; %bb.28:                               ;   in Loop: Header=BB6_20 Depth=1
	v_lshlrev_b32_e64 v6, v4, 1
	v_dual_mov_b32 v2, 0 :: v_dual_mov_b32 v5, v1
	v_mov_b32_e32 v4, v0
	s_mov_b32 s6, 0
	s_delay_alu instid0(VALU_DEP_3)
	v_not_b32_e32 v7, v6
	s_mov_b32 s7, 0
	s_branch .LBB6_30
.LBB6_29:                               ;   in Loop: Header=BB6_30 Depth=2
	s_wait_alu 0xfffe
	s_or_b32 exec_lo, exec_lo, s1
	s_add_co_i32 s7, s7, 1
	v_add_co_u32 v4, s1, v4, 4
	s_wait_alu 0xfffe
	v_cmp_ge_i32_e64 s0, s7, v80
	s_wait_alu 0xf1ff
	v_add_co_ci_u32_e64 v5, null, 0, v5, s1
	s_or_b32 s6, s0, s6
	s_wait_alu 0xfffe
	s_and_not1_b32 exec_lo, exec_lo, s6
	s_cbranch_execz .LBB6_32
.LBB6_30:                               ;   Parent Loop BB6_20 Depth=1
                                        ; =>  This Inner Loop Header: Depth=2
	flat_load_b32 v10, v[4:5]
	s_mov_b32 s1, exec_lo
	s_wait_loadcnt_dscnt 0x0
	v_and_b32_e32 v3, v10, v6
	s_delay_alu instid0(VALU_DEP_1)
	v_cmpx_ne_u32_e32 0, v3
	s_cbranch_execz .LBB6_29
; %bb.31:                               ;   in Loop: Header=BB6_30 Depth=2
	v_ashrrev_i32_e32 v3, 31, v2
	s_delay_alu instid0(VALU_DEP_1) | instskip(SKIP_2) | instid1(VALU_DEP_3)
	v_lshlrev_b64_e32 v[11:12], 2, v[2:3]
	v_and_b32_e32 v3, v10, v7
	v_add_nc_u32_e32 v2, 1, v2
	v_add_co_u32 v10, s0, v8, v11
	s_wait_alu 0xf1ff
	s_delay_alu instid0(VALU_DEP_4)
	v_add_co_ci_u32_e64 v11, null, v9, v12, s0
	flat_store_b32 v[10:11], v3 offset:4
	s_branch .LBB6_29
.LBB6_32:                               ;   in Loop: Header=BB6_20 Depth=1
	s_or_b32 exec_lo, exec_lo, s6
.LBB6_33:                               ;   in Loop: Header=BB6_20 Depth=1
	s_wait_alu 0xfffe
	s_or_b32 exec_lo, exec_lo, s2
	v_cmp_gt_i32_e64 s0, 1, v2
	v_mov_b32_e32 v5, -1
	s_mov_b32 s6, exec_lo
	v_cmpx_lt_i32_e32 0, v2
	s_cbranch_execz .LBB6_37
; %bb.34:                               ;   in Loop: Header=BB6_20 Depth=1
	v_dual_mov_b32 v5, -1 :: v_dual_mov_b32 v4, v1
	v_dual_mov_b32 v3, v0 :: v_dual_mov_b32 v6, v2
	s_mov_b32 s7, 0
.LBB6_35:                               ;   Parent Loop BB6_20 Depth=1
                                        ; =>  This Inner Loop Header: Depth=2
	flat_load_b32 v7, v[3:4]
	v_add_nc_u32_e32 v6, -1, v6
	v_add_co_u32 v3, s1, v3, 4
	s_wait_alu 0xf1ff
	v_add_co_ci_u32_e64 v4, null, 0, v4, s1
	s_delay_alu instid0(VALU_DEP_3)
	v_cmp_eq_u32_e64 s2, 0, v6
	s_wait_alu 0xfffe
	s_or_b32 s7, s2, s7
	s_wait_loadcnt_dscnt 0x0
	v_and_b32_e32 v5, v7, v5
	s_wait_alu 0xfffe
	s_and_not1_b32 exec_lo, exec_lo, s7
	s_cbranch_execnz .LBB6_35
; %bb.36:                               ;   in Loop: Header=BB6_20 Depth=1
	s_or_b32 exec_lo, exec_lo, s7
.LBB6_37:                               ;   in Loop: Header=BB6_20 Depth=1
	s_wait_alu 0xfffe
	s_or_b32 exec_lo, exec_lo, s6
	v_cmp_ne_u32_e64 s1, 0, v5
	s_xor_b32 s0, s0, -1
	s_wait_alu 0xfffe
	s_and_b32 s0, s0, s1
	s_wait_alu 0xfffe
	s_and_saveexec_b32 s2, s0
	s_cbranch_execz .LBB6_18
; %bb.38:                               ;   in Loop: Header=BB6_20 Depth=1
	v_not_b32_e32 v5, v5
	v_dual_mov_b32 v4, v1 :: v_dual_mov_b32 v3, v0
	v_mov_b32_e32 v6, v2
	s_mov_b32 s6, 0
.LBB6_39:                               ;   Parent Loop BB6_20 Depth=1
                                        ; =>  This Inner Loop Header: Depth=2
	flat_load_b32 v7, v[3:4]
	v_add_nc_u32_e32 v6, -1, v6
	s_delay_alu instid0(VALU_DEP_1)
	v_cmp_eq_u32_e64 s0, 0, v6
	s_wait_alu 0xfffe
	s_or_b32 s6, s0, s6
	s_wait_loadcnt_dscnt 0x0
	v_and_b32_e32 v7, v7, v5
	flat_store_b32 v[3:4], v7
	v_add_co_u32 v3, s1, v3, 4
	s_wait_alu 0xf1ff
	v_add_co_ci_u32_e64 v4, null, 0, v4, s1
	s_wait_alu 0xfffe
	s_and_not1_b32 exec_lo, exec_lo, s6
	s_cbranch_execnz .LBB6_39
	s_branch .LBB6_18
.LBB6_40:
	s_or_b32 exec_lo, exec_lo, s4
	s_mov_b32 s0, -1
	s_mov_b32 s1, s54
	scratch_store_b32 off, v80, s33 offset:108
	s_wait_alu 0xfffe
	s_and_saveexec_b32 s20, s3
	s_cbranch_execz .LBB6_42
; %bb.41:
	s_getpc_b64 s[0:1]
	s_wait_alu 0xfffe
	s_sext_i32_i16 s1, s1
	s_add_co_u32 s0, s0, .str.35@rel32@lo+12
	s_wait_alu 0xfffe
	s_add_co_ci_u32 s1, s1, .str.35@rel32@hi+24
	s_getpc_b64 s[2:3]
	s_wait_alu 0xfffe
	s_sext_i32_i16 s3, s3
	s_add_co_u32 s2, s2, .str.31@rel32@lo+12
	s_wait_alu 0xfffe
	s_add_co_ci_u32 s3, s3, .str.31@rel32@hi+24
	s_getpc_b64 s[4:5]
	s_wait_alu 0xfffe
	s_sext_i32_i16 s5, s5
	s_add_co_u32 s4, s4, __PRETTY_FUNCTION__._ZN3sop10sopDivisorEPNS_3SopES1_iP7VecsMemIjLi8192EE@rel32@lo+12
	s_wait_alu 0xfffe
	s_add_co_ci_u32 s5, s5, __PRETTY_FUNCTION__._ZN3sop10sopDivisorEPNS_3SopES1_iP7VecsMemIjLi8192EE@rel32@hi+24
	v_dual_mov_b32 v0, s0 :: v_dual_mov_b32 v1, s1
	v_dual_mov_b32 v2, s2 :: v_dual_mov_b32 v3, s3
	;; [unrolled: 1-line block ×3, first 2 shown]
	s_wait_alu 0xfffe
	v_mov_b32_e32 v6, s5
	s_getpc_b64 s[6:7]
	s_wait_alu 0xfffe
	s_sext_i32_i16 s7, s7
	s_add_co_u32 s6, s6, __assert_fail@rel32@lo+12
	s_wait_alu 0xfffe
	s_add_co_ci_u32 s7, s7, __assert_fail@rel32@hi+24
	s_mov_b64 s[8:9], s[52:53]
	s_wait_alu 0xfffe
	s_swappc_b64 s[30:31], s[6:7]
	s_or_b32 s1, s54, exec_lo
	s_xor_b32 s0, exec_lo, -1
.LBB6_42:
	s_wait_alu 0xfffe
	s_or_b32 exec_lo, exec_lo, s20
	s_delay_alu instid0(SALU_CYCLE_1)
	s_and_not1_b32 s2, s54, exec_lo
	s_and_b32 s1, s1, exec_lo
	s_and_b32 s0, s0, exec_lo
	s_wait_alu 0xfffe
	s_or_b32 s2, s2, s1
	s_xor_b32 s1, exec_lo, -1
.LBB6_43:
	s_wait_alu 0xfffe
	s_or_b32 exec_lo, exec_lo, s19
	s_delay_alu instid0(SALU_CYCLE_1)
	s_and_not1_b32 s3, s54, exec_lo
	s_and_b32 s2, s2, exec_lo
	s_or_not1_b32 s4, s1, exec_lo
	s_wait_alu 0xfffe
	s_or_b32 s5, s3, s2
	s_and_b32 s2, s1, exec_lo
	s_or_not1_b32 s3, s0, exec_lo
.LBB6_44:
	s_wait_alu 0xfffe
	s_or_b32 exec_lo, exec_lo, s18
	s_delay_alu instid0(SALU_CYCLE_1)
	s_and_not1_b32 s1, s54, exec_lo
	s_and_b32 s5, s5, exec_lo
	s_or_not1_b32 s0, s4, exec_lo
	s_wait_alu 0xfffe
	s_or_b32 s64, s1, s5
	s_and_b32 s65, s2, exec_lo
	s_or_not1_b32 s1, s3, exec_lo
.LBB6_45:
	s_wait_alu 0xfffe
	s_or_b32 exec_lo, exec_lo, s17
                                        ; implicit-def: $vgpr41
	s_and_saveexec_b32 s66, s1
	s_cbranch_execz .LBB6_2764
; %bb.46:
	s_xor_b32 s0, s0, -1
	s_mov_b32 s67, s64
                                        ; implicit-def: $vgpr41
	s_wait_alu 0xfffe
	s_and_saveexec_b32 s1, s0
	s_wait_alu 0xfffe
	s_xor_b32 s20, exec_lo, s1
	s_cbranch_execz .LBB6_2761
; %bb.47:
	flat_load_b32 v56, v[54:55] offset:4
	s_mov_b32 s17, s64
                                        ; implicit-def: $vgpr41
	s_mov_b32 s0, exec_lo
	s_wait_loadcnt_dscnt 0x0
	v_cmpx_ge_i32_e64 v56, v80
	s_wait_alu 0xfffe
	s_xor_b32 s21, exec_lo, s0
	s_cbranch_execz .LBB6_2758
; %bb.48:
	s_mov_b32 s22, 0
	s_mov_b32 s1, 0
	;; [unrolled: 1-line block ×3, first 2 shown]
                                        ; implicit-def: $vgpr68
                                        ; implicit-def: $vgpr66_vgpr67
                                        ; implicit-def: $vgpr64_vgpr65
	s_mov_b32 s0, exec_lo
	v_cmpx_ne_u32_e32 1, v80
	s_wait_alu 0xfffe
	s_xor_b32 s17, exec_lo, s0
	s_cbranch_execnz .LBB6_51
; %bb.49:
	s_wait_alu 0xfffe
	s_or_saveexec_b32 s2, s17
	s_mov_b32 s25, 0
	s_wait_alu 0xfffe
	s_xor_b32 exec_lo, exec_lo, s2
	s_cbranch_execnz .LBB6_399
.LBB6_50:
	s_or_b32 exec_lo, exec_lo, s2
                                        ; implicit-def: $vgpr41
	s_and_saveexec_b32 s26, s1
	s_cbranch_execnz .LBB6_410
	s_branch .LBB6_2485
.LBB6_51:
	v_cvt_f32_u32_e32 v0, v80
	v_sub_nc_u32_e32 v1, 0, v80
	v_mov_b32_e32 v66, 0
	s_mov_b32 s1, -1
	s_mov_b32 s18, s64
	v_rcp_iflag_f32_e32 v0, v0
	s_mov_b32 s19, exec_lo
	s_delay_alu instid0(TRANS32_DEP_1) | instskip(NEXT) | instid1(VALU_DEP_1)
	v_dual_mov_b32 v67, 0 :: v_dual_mul_f32 v0, 0x4f7ffffe, v0
	v_cvt_u32_f32_e32 v0, v0
	s_delay_alu instid0(VALU_DEP_1) | instskip(NEXT) | instid1(VALU_DEP_1)
	v_mul_lo_u32 v1, v1, v0
	v_mul_hi_u32 v1, v0, v1
	s_delay_alu instid0(VALU_DEP_1) | instskip(NEXT) | instid1(VALU_DEP_1)
	v_add_nc_u32_e32 v0, v0, v1
	v_mul_hi_u32 v0, v56, v0
	s_delay_alu instid0(VALU_DEP_1) | instskip(SKIP_1) | instid1(VALU_DEP_2)
	v_mul_lo_u32 v1, v0, v80
	v_add_nc_u32_e32 v2, 1, v0
	v_sub_nc_u32_e32 v1, v56, v1
	s_delay_alu instid0(VALU_DEP_1) | instskip(SKIP_2) | instid1(VALU_DEP_2)
	v_sub_nc_u32_e32 v3, v1, v80
	v_cmp_ge_u32_e32 vcc_lo, v1, v80
	s_wait_alu 0xfffd
	v_dual_cndmask_b32 v0, v0, v2 :: v_dual_cndmask_b32 v1, v1, v3
	s_delay_alu instid0(VALU_DEP_1) | instskip(NEXT) | instid1(VALU_DEP_2)
	v_add_nc_u32_e32 v2, 1, v0
	v_cmp_ge_u32_e32 vcc_lo, v1, v80
	s_wait_alu 0xfffd
	s_delay_alu instid0(VALU_DEP_2)
	v_dual_mov_b32 v1, 0 :: v_dual_cndmask_b32 v0, v0, v2
	scratch_store_b32 off, v1, s33 offset:124
	v_cmpx_lt_i32_e32 0, v0
	s_cbranch_execz .LBB6_191
; %bb.52:
	flat_load_b32 v1, v[44:45]
	v_mov_b32_e32 v66, 0
	s_mov_b32 s23, 0
	s_mov_b32 s0, exec_lo
	s_wait_loadcnt_dscnt 0x0
	v_dual_mov_b32 v67, 0 :: v_dual_add_nc_u32 v2, v1, v0
	s_delay_alu instid0(VALU_DEP_1)
	v_cmpx_gt_i32_e32 0x2001, v2
	s_wait_alu 0xfffe
	s_xor_b32 s0, exec_lo, s0
	s_cbranch_execz .LBB6_54
; %bb.53:
	v_ashrrev_i32_e32 v3, 31, v2
	v_mov_b32_e32 v1, 0
	s_mov_b32 s23, exec_lo
	flat_store_b32 v[44:45], v2
	v_lshlrev_b64_e32 v[3:4], 2, v[2:3]
	v_lshlrev_b64_e32 v[0:1], 2, v[0:1]
	s_delay_alu instid0(VALU_DEP_2) | instskip(SKIP_1) | instid1(VALU_DEP_3)
	v_add_co_u32 v3, vcc_lo, v44, v3
	s_wait_alu 0xfffd
	v_add_co_ci_u32_e64 v4, null, v45, v4, vcc_lo
	s_delay_alu instid0(VALU_DEP_2) | instskip(SKIP_1) | instid1(VALU_DEP_2)
	v_sub_co_u32 v0, vcc_lo, v3, v0
	s_wait_alu 0xfffd
	v_sub_co_ci_u32_e64 v1, null, v4, v1, vcc_lo
	s_delay_alu instid0(VALU_DEP_2) | instskip(SKIP_1) | instid1(VALU_DEP_2)
	v_add_co_u32 v66, vcc_lo, v0, 4
	s_wait_alu 0xfffd
	v_add_co_ci_u32_e64 v67, null, 0, v1, vcc_lo
.LBB6_54:
	s_wait_alu 0xfffe
	s_or_saveexec_b32 s18, s0
	s_mov_b32 s0, s64
	s_wait_alu 0xfffe
	s_xor_b32 exec_lo, exec_lo, s18
	s_cbranch_execz .LBB6_190
; %bb.55:
	s_load_b64 s[2:3], s[52:53], 0x50
	v_mbcnt_lo_u32_b32 v31, -1, 0
	v_mov_b32_e32 v6, 0
	v_mov_b32_e32 v7, 0
	s_delay_alu instid0(VALU_DEP_3) | instskip(SKIP_1) | instid1(VALU_DEP_1)
	v_readfirstlane_b32 s0, v31
	s_wait_alu 0xf1ff
	v_cmp_eq_u32_e64 s0, s0, v31
	s_and_saveexec_b32 s1, s0
	s_cbranch_execz .LBB6_61
; %bb.56:
	v_mov_b32_e32 v0, 0
	s_mov_b32 s4, exec_lo
	s_wait_kmcnt 0x0
	global_load_b64 v[3:4], v0, s[2:3] offset:24 scope:SCOPE_SYS
	s_wait_loadcnt 0x0
	global_inv scope:SCOPE_SYS
	s_clause 0x1
	global_load_b64 v[1:2], v0, s[2:3] offset:40
	global_load_b64 v[5:6], v0, s[2:3]
	s_wait_loadcnt 0x1
	v_and_b32_e32 v2, v2, v4
	v_and_b32_e32 v1, v1, v3
	s_delay_alu instid0(VALU_DEP_2) | instskip(NEXT) | instid1(VALU_DEP_2)
	v_mul_lo_u32 v2, 24, v2
	v_mul_lo_u32 v7, 0, v1
	v_mul_hi_u32 v8, 24, v1
	v_mul_lo_u32 v1, 24, v1
	s_delay_alu instid0(VALU_DEP_3) | instskip(SKIP_1) | instid1(VALU_DEP_2)
	v_add_nc_u32_e32 v2, v2, v7
	s_wait_loadcnt 0x0
	v_add_co_u32 v1, vcc_lo, v5, v1
	s_delay_alu instid0(VALU_DEP_2) | instskip(SKIP_1) | instid1(VALU_DEP_1)
	v_add_nc_u32_e32 v2, v2, v8
	s_wait_alu 0xfffd
	v_add_co_ci_u32_e64 v2, null, v6, v2, vcc_lo
	global_load_b64 v[1:2], v[1:2], off scope:SCOPE_SYS
	s_wait_loadcnt 0x0
	global_atomic_cmpswap_b64 v[6:7], v0, v[1:4], s[2:3] offset:24 th:TH_ATOMIC_RETURN scope:SCOPE_SYS
	s_wait_loadcnt 0x0
	global_inv scope:SCOPE_SYS
	v_cmpx_ne_u64_e64 v[6:7], v[3:4]
	s_cbranch_execz .LBB6_60
; %bb.57:
	s_mov_b32 s5, 0
.LBB6_58:                               ; =>This Inner Loop Header: Depth=1
	s_sleep 1
	s_clause 0x1
	global_load_b64 v[1:2], v0, s[2:3] offset:40
	global_load_b64 v[8:9], v0, s[2:3]
	v_dual_mov_b32 v3, v6 :: v_dual_mov_b32 v4, v7
	s_wait_loadcnt 0x1
	s_delay_alu instid0(VALU_DEP_1) | instskip(NEXT) | instid1(VALU_DEP_2)
	v_and_b32_e32 v1, v1, v3
	v_and_b32_e32 v2, v2, v4
	s_wait_loadcnt 0x0
	s_delay_alu instid0(VALU_DEP_2) | instskip(NEXT) | instid1(VALU_DEP_1)
	v_mad_co_u64_u32 v[5:6], null, v1, 24, v[8:9]
	v_mov_b32_e32 v1, v6
	s_delay_alu instid0(VALU_DEP_1) | instskip(NEXT) | instid1(VALU_DEP_1)
	v_mad_co_u64_u32 v[1:2], null, v2, 24, v[1:2]
	v_mov_b32_e32 v6, v1
	global_load_b64 v[1:2], v[5:6], off scope:SCOPE_SYS
	s_wait_loadcnt 0x0
	global_atomic_cmpswap_b64 v[6:7], v0, v[1:4], s[2:3] offset:24 th:TH_ATOMIC_RETURN scope:SCOPE_SYS
	s_wait_loadcnt 0x0
	global_inv scope:SCOPE_SYS
	v_cmp_eq_u64_e32 vcc_lo, v[6:7], v[3:4]
	s_wait_alu 0xfffe
	s_or_b32 s5, vcc_lo, s5
	s_wait_alu 0xfffe
	s_and_not1_b32 exec_lo, exec_lo, s5
	s_cbranch_execnz .LBB6_58
; %bb.59:
	s_or_b32 exec_lo, exec_lo, s5
.LBB6_60:
	s_wait_alu 0xfffe
	s_or_b32 exec_lo, exec_lo, s4
.LBB6_61:
	s_wait_alu 0xfffe
	s_or_b32 exec_lo, exec_lo, s1
	v_readfirstlane_b32 s4, v6
	v_mov_b32_e32 v5, 0
	v_readfirstlane_b32 s5, v7
	s_mov_b32 s1, exec_lo
	s_wait_kmcnt 0x0
	s_clause 0x1
	global_load_b64 v[8:9], v5, s[2:3] offset:40
	global_load_b128 v[0:3], v5, s[2:3]
	s_wait_loadcnt 0x1
	s_wait_alu 0xf1ff
	v_and_b32_e32 v11, s5, v9
	v_and_b32_e32 v10, s4, v8
	s_delay_alu instid0(VALU_DEP_2) | instskip(NEXT) | instid1(VALU_DEP_2)
	v_mul_lo_u32 v4, 24, v11
	v_mul_lo_u32 v6, 0, v10
	v_mul_hi_u32 v7, 24, v10
	v_mul_lo_u32 v8, 24, v10
	s_delay_alu instid0(VALU_DEP_3) | instskip(SKIP_1) | instid1(VALU_DEP_2)
	v_add_nc_u32_e32 v4, v4, v6
	s_wait_loadcnt 0x0
	v_add_co_u32 v8, vcc_lo, v0, v8
	s_delay_alu instid0(VALU_DEP_2) | instskip(SKIP_1) | instid1(VALU_DEP_1)
	v_add_nc_u32_e32 v4, v4, v7
	s_wait_alu 0xfffd
	v_add_co_ci_u32_e64 v9, null, v1, v4, vcc_lo
	s_and_saveexec_b32 s6, s0
	s_cbranch_execz .LBB6_63
; %bb.62:
	s_wait_alu 0xfffe
	v_dual_mov_b32 v4, s1 :: v_dual_mov_b32 v7, 1
	v_mov_b32_e32 v6, 2
	global_store_b128 v[8:9], v[4:7], off offset:8
.LBB6_63:
	s_wait_alu 0xfffe
	s_or_b32 exec_lo, exec_lo, s6
	v_lshlrev_b64_e32 v[10:11], 12, v[10:11]
	v_dual_mov_b32 v7, v5 :: v_dual_lshlrev_b32 v30, 6, v31
	s_mov_b32 s8, 0
	s_wait_alu 0xfffe
	s_mov_b32 s11, s8
	s_delay_alu instid0(VALU_DEP_2)
	v_add_co_u32 v2, vcc_lo, v2, v10
	s_wait_alu 0xfffd
	v_add_co_ci_u32_e64 v3, null, v3, v11, vcc_lo
	s_mov_b32 s9, s8
	v_add_co_u32 v10, vcc_lo, v2, v30
	s_mov_b32 s10, s8
	s_wait_alu 0xfffe
	v_dual_mov_b32 v4, 33 :: v_dual_mov_b32 v15, s11
	v_dual_mov_b32 v6, v5 :: v_dual_mov_b32 v13, s9
	v_readfirstlane_b32 s6, v2
	v_readfirstlane_b32 s7, v3
	s_wait_alu 0xfffd
	v_add_co_ci_u32_e64 v11, null, 0, v3, vcc_lo
	v_mov_b32_e32 v14, s10
	v_mov_b32_e32 v12, s8
	s_clause 0x3
	global_store_b128 v30, v[4:7], s[6:7]
	global_store_b128 v30, v[12:15], s[6:7] offset:16
	global_store_b128 v30, v[12:15], s[6:7] offset:32
	;; [unrolled: 1-line block ×3, first 2 shown]
	s_and_saveexec_b32 s1, s0
	s_cbranch_execz .LBB6_71
; %bb.64:
	v_mov_b32_e32 v6, 0
	s_mov_b32 s6, exec_lo
	s_clause 0x1
	global_load_b64 v[14:15], v6, s[2:3] offset:32 scope:SCOPE_SYS
	global_load_b64 v[2:3], v6, s[2:3] offset:40
	v_dual_mov_b32 v13, s5 :: v_dual_mov_b32 v12, s4
	s_wait_loadcnt 0x0
	v_and_b32_e32 v3, s5, v3
	v_and_b32_e32 v2, s4, v2
	s_delay_alu instid0(VALU_DEP_2) | instskip(NEXT) | instid1(VALU_DEP_2)
	v_mul_lo_u32 v3, 24, v3
	v_mul_lo_u32 v4, 0, v2
	v_mul_hi_u32 v5, 24, v2
	v_mul_lo_u32 v2, 24, v2
	s_delay_alu instid0(VALU_DEP_3) | instskip(NEXT) | instid1(VALU_DEP_2)
	v_add_nc_u32_e32 v3, v3, v4
	v_add_co_u32 v4, vcc_lo, v0, v2
	s_delay_alu instid0(VALU_DEP_2) | instskip(SKIP_1) | instid1(VALU_DEP_1)
	v_add_nc_u32_e32 v3, v3, v5
	s_wait_alu 0xfffd
	v_add_co_ci_u32_e64 v5, null, v1, v3, vcc_lo
	global_store_b64 v[4:5], v[14:15], off
	global_wb scope:SCOPE_SYS
	s_wait_storecnt 0x0
	global_atomic_cmpswap_b64 v[2:3], v6, v[12:15], s[2:3] offset:32 th:TH_ATOMIC_RETURN scope:SCOPE_SYS
	s_wait_loadcnt 0x0
	v_cmpx_ne_u64_e64 v[2:3], v[14:15]
	s_cbranch_execz .LBB6_67
; %bb.65:
	s_mov_b32 s7, 0
.LBB6_66:                               ; =>This Inner Loop Header: Depth=1
	v_dual_mov_b32 v0, s4 :: v_dual_mov_b32 v1, s5
	s_sleep 1
	global_store_b64 v[4:5], v[2:3], off
	global_wb scope:SCOPE_SYS
	s_wait_storecnt 0x0
	global_atomic_cmpswap_b64 v[0:1], v6, v[0:3], s[2:3] offset:32 th:TH_ATOMIC_RETURN scope:SCOPE_SYS
	s_wait_loadcnt 0x0
	v_cmp_eq_u64_e32 vcc_lo, v[0:1], v[2:3]
	v_dual_mov_b32 v3, v1 :: v_dual_mov_b32 v2, v0
	s_wait_alu 0xfffe
	s_or_b32 s7, vcc_lo, s7
	s_wait_alu 0xfffe
	s_and_not1_b32 exec_lo, exec_lo, s7
	s_cbranch_execnz .LBB6_66
.LBB6_67:
	s_wait_alu 0xfffe
	s_or_b32 exec_lo, exec_lo, s6
	v_mov_b32_e32 v3, 0
	s_mov_b32 s7, exec_lo
	s_mov_b32 s6, exec_lo
	s_wait_alu 0xfffe
	v_mbcnt_lo_u32_b32 v2, s7, 0
	global_load_b64 v[0:1], v3, s[2:3] offset:16
	v_cmpx_eq_u32_e32 0, v2
	s_cbranch_execz .LBB6_69
; %bb.68:
	s_bcnt1_i32_b32 s7, s7
	s_wait_alu 0xfffe
	v_mov_b32_e32 v2, s7
	global_wb scope:SCOPE_SYS
	s_wait_loadcnt 0x0
	s_wait_storecnt 0x0
	global_atomic_add_u64 v[0:1], v[2:3], off offset:8 scope:SCOPE_SYS
.LBB6_69:
	s_or_b32 exec_lo, exec_lo, s6
	s_wait_loadcnt 0x0
	global_load_b64 v[2:3], v[0:1], off offset:16
	s_wait_loadcnt 0x0
	v_cmp_eq_u64_e32 vcc_lo, 0, v[2:3]
	s_cbranch_vccnz .LBB6_71
; %bb.70:
	global_load_b32 v0, v[0:1], off offset:24
	v_mov_b32_e32 v1, 0
	s_wait_loadcnt 0x0
	v_readfirstlane_b32 s6, v0
	global_wb scope:SCOPE_SYS
	s_wait_storecnt 0x0
	global_store_b64 v[2:3], v[0:1], off scope:SCOPE_SYS
	s_and_b32 m0, s6, 0xffffff
	s_sendmsg sendmsg(MSG_INTERRUPT)
.LBB6_71:
	s_wait_alu 0xfffe
	s_or_b32 exec_lo, exec_lo, s1
	s_branch .LBB6_75
.LBB6_72:                               ;   in Loop: Header=BB6_75 Depth=1
	s_wait_alu 0xfffe
	s_or_b32 exec_lo, exec_lo, s1
	s_delay_alu instid0(VALU_DEP_1)
	v_readfirstlane_b32 s1, v0
	s_cmp_eq_u32 s1, 0
	s_cbranch_scc1 .LBB6_74
; %bb.73:                               ;   in Loop: Header=BB6_75 Depth=1
	s_sleep 1
	s_cbranch_execnz .LBB6_75
	s_branch .LBB6_77
.LBB6_74:
	s_branch .LBB6_77
.LBB6_75:                               ; =>This Inner Loop Header: Depth=1
	v_mov_b32_e32 v0, 1
	s_and_saveexec_b32 s1, s0
	s_cbranch_execz .LBB6_72
; %bb.76:                               ;   in Loop: Header=BB6_75 Depth=1
	global_load_b32 v0, v[8:9], off offset:20 scope:SCOPE_SYS
	s_wait_loadcnt 0x0
	global_inv scope:SCOPE_SYS
	v_and_b32_e32 v0, 1, v0
	s_branch .LBB6_72
.LBB6_77:
	global_load_b64 v[0:1], v[10:11], off
	s_and_saveexec_b32 s6, s0
	s_cbranch_execz .LBB6_81
; %bb.78:
	v_mov_b32_e32 v8, 0
	s_clause 0x2
	global_load_b64 v[2:3], v8, s[2:3] offset:40
	global_load_b64 v[11:12], v8, s[2:3] offset:24 scope:SCOPE_SYS
	global_load_b64 v[4:5], v8, s[2:3]
	s_wait_loadcnt 0x2
	v_readfirstlane_b32 s8, v2
	v_readfirstlane_b32 s9, v3
	s_add_nc_u64 s[0:1], s[8:9], 1
	s_wait_alu 0xfffe
	s_add_nc_u64 s[4:5], s[0:1], s[4:5]
	s_wait_alu 0xfffe
	s_cmp_eq_u64 s[4:5], 0
	s_cselect_b32 s1, s1, s5
	s_cselect_b32 s0, s0, s4
	s_wait_alu 0xfffe
	v_mov_b32_e32 v10, s1
	s_and_b64 s[4:5], s[0:1], s[8:9]
	v_mov_b32_e32 v9, s0
	s_wait_alu 0xfffe
	s_mul_u64 s[4:5], s[4:5], 24
	s_wait_loadcnt 0x0
	s_wait_alu 0xfffe
	v_add_co_u32 v6, vcc_lo, v4, s4
	s_wait_alu 0xfffd
	v_add_co_ci_u32_e64 v7, null, s5, v5, vcc_lo
	global_store_b64 v[6:7], v[11:12], off
	global_wb scope:SCOPE_SYS
	s_wait_storecnt 0x0
	global_atomic_cmpswap_b64 v[4:5], v8, v[9:12], s[2:3] offset:24 th:TH_ATOMIC_RETURN scope:SCOPE_SYS
	s_wait_loadcnt 0x0
	v_cmp_ne_u64_e32 vcc_lo, v[4:5], v[11:12]
	s_and_b32 exec_lo, exec_lo, vcc_lo
	s_cbranch_execz .LBB6_81
; %bb.79:
	s_mov_b32 s4, 0
.LBB6_80:                               ; =>This Inner Loop Header: Depth=1
	v_dual_mov_b32 v2, s0 :: v_dual_mov_b32 v3, s1
	s_sleep 1
	global_store_b64 v[6:7], v[4:5], off
	global_wb scope:SCOPE_SYS
	s_wait_storecnt 0x0
	global_atomic_cmpswap_b64 v[2:3], v8, v[2:5], s[2:3] offset:24 th:TH_ATOMIC_RETURN scope:SCOPE_SYS
	s_wait_loadcnt 0x0
	v_cmp_eq_u64_e32 vcc_lo, v[2:3], v[4:5]
	v_dual_mov_b32 v5, v3 :: v_dual_mov_b32 v4, v2
	s_wait_alu 0xfffe
	s_or_b32 s4, vcc_lo, s4
	s_wait_alu 0xfffe
	s_and_not1_b32 exec_lo, exec_lo, s4
	s_cbranch_execnz .LBB6_80
.LBB6_81:
	s_wait_alu 0xfffe
	s_or_b32 exec_lo, exec_lo, s6
	s_getpc_b64 s[4:5]
	s_wait_alu 0xfffe
	s_sext_i32_i16 s5, s5
	s_add_co_u32 s4, s4, .str.28@rel32@lo+12
	s_wait_alu 0xfffe
	s_add_co_ci_u32 s5, s5, .str.28@rel32@hi+24
	s_wait_alu 0xfffe
	s_cmp_lg_u64 s[4:5], 0
	s_cbranch_scc0 .LBB6_160
; %bb.82:
	s_wait_loadcnt 0x0
	v_dual_mov_b32 v7, v1 :: v_dual_and_b32 v6, -3, v0
	v_dual_mov_b32 v3, 0 :: v_dual_mov_b32 v4, 2
	v_mov_b32_e32 v5, 1
	s_mov_b64 s[6:7], 35
	s_branch .LBB6_84
.LBB6_83:                               ;   in Loop: Header=BB6_84 Depth=1
	s_wait_alu 0xfffe
	s_or_b32 exec_lo, exec_lo, s12
	s_sub_nc_u64 s[6:7], s[6:7], s[8:9]
	s_add_nc_u64 s[4:5], s[4:5], s[8:9]
	s_wait_alu 0xfffe
	s_cmp_lg_u64 s[6:7], 0
	s_cbranch_scc0 .LBB6_159
.LBB6_84:                               ; =>This Loop Header: Depth=1
                                        ;     Child Loop BB6_87 Depth 2
                                        ;     Child Loop BB6_94 Depth 2
	;; [unrolled: 1-line block ×11, first 2 shown]
	s_wait_alu 0xfffe
	v_cmp_lt_u64_e64 s0, s[6:7], 56
	v_cmp_gt_u64_e64 s1, s[6:7], 7
	s_and_b32 s0, s0, exec_lo
	s_cselect_b32 s9, s7, 0
	s_cselect_b32 s8, s6, 56
	s_and_b32 vcc_lo, exec_lo, s1
	s_wait_alu 0xfffe
	s_cbranch_vccnz .LBB6_89
; %bb.85:                               ;   in Loop: Header=BB6_84 Depth=1
	s_wait_loadcnt 0x0
	v_mov_b32_e32 v8, 0
	v_mov_b32_e32 v9, 0
	s_cmp_eq_u64 s[6:7], 0
	s_cbranch_scc1 .LBB6_88
; %bb.86:                               ;   in Loop: Header=BB6_84 Depth=1
	s_mov_b64 s[0:1], 0
	s_mov_b64 s[10:11], 0
.LBB6_87:                               ;   Parent Loop BB6_84 Depth=1
                                        ; =>  This Inner Loop Header: Depth=2
	s_wait_alu 0xfffe
	s_add_nc_u64 s[12:13], s[4:5], s[10:11]
	s_add_nc_u64 s[10:11], s[10:11], 1
	global_load_u8 v2, v3, s[12:13]
	s_wait_alu 0xfffe
	s_cmp_lg_u32 s8, s10
	s_wait_loadcnt 0x0
	v_and_b32_e32 v2, 0xffff, v2
	s_delay_alu instid0(VALU_DEP_1) | instskip(SKIP_1) | instid1(VALU_DEP_1)
	v_lshlrev_b64_e32 v[10:11], s0, v[2:3]
	s_add_nc_u64 s[0:1], s[0:1], 8
	v_or_b32_e32 v8, v10, v8
	s_delay_alu instid0(VALU_DEP_2)
	v_or_b32_e32 v9, v11, v9
	s_cbranch_scc1 .LBB6_87
.LBB6_88:                               ;   in Loop: Header=BB6_84 Depth=1
	s_mov_b64 s[10:11], s[4:5]
	s_mov_b32 s14, 0
	s_cbranch_execz .LBB6_90
	s_branch .LBB6_91
.LBB6_89:                               ;   in Loop: Header=BB6_84 Depth=1
	s_add_nc_u64 s[10:11], s[4:5], 8
	s_mov_b32 s14, 0
.LBB6_90:                               ;   in Loop: Header=BB6_84 Depth=1
	s_wait_loadcnt 0x0
	global_load_b64 v[8:9], v3, s[4:5]
	s_add_co_i32 s14, s8, -8
.LBB6_91:                               ;   in Loop: Header=BB6_84 Depth=1
	s_wait_alu 0xfffe
	s_cmp_gt_u32 s14, 7
	s_cbranch_scc1 .LBB6_96
; %bb.92:                               ;   in Loop: Header=BB6_84 Depth=1
	v_mov_b32_e32 v10, 0
	v_mov_b32_e32 v11, 0
	s_cmp_eq_u32 s14, 0
	s_cbranch_scc1 .LBB6_95
; %bb.93:                               ;   in Loop: Header=BB6_84 Depth=1
	s_mov_b64 s[0:1], 0
	s_mov_b64 s[12:13], 0
.LBB6_94:                               ;   Parent Loop BB6_84 Depth=1
                                        ; =>  This Inner Loop Header: Depth=2
	s_wait_alu 0xfffe
	s_add_nc_u64 s[24:25], s[10:11], s[12:13]
	s_add_nc_u64 s[12:13], s[12:13], 1
	global_load_u8 v2, v3, s[24:25]
	s_wait_alu 0xfffe
	s_cmp_lg_u32 s14, s12
	s_wait_loadcnt 0x0
	v_and_b32_e32 v2, 0xffff, v2
	s_delay_alu instid0(VALU_DEP_1) | instskip(SKIP_1) | instid1(VALU_DEP_1)
	v_lshlrev_b64_e32 v[12:13], s0, v[2:3]
	s_add_nc_u64 s[0:1], s[0:1], 8
	v_or_b32_e32 v10, v12, v10
	s_delay_alu instid0(VALU_DEP_2)
	v_or_b32_e32 v11, v13, v11
	s_cbranch_scc1 .LBB6_94
.LBB6_95:                               ;   in Loop: Header=BB6_84 Depth=1
	s_mov_b64 s[0:1], s[10:11]
	s_mov_b32 s15, 0
	s_cbranch_execz .LBB6_97
	s_branch .LBB6_98
.LBB6_96:                               ;   in Loop: Header=BB6_84 Depth=1
	s_add_nc_u64 s[0:1], s[10:11], 8
                                        ; implicit-def: $vgpr10_vgpr11
	s_mov_b32 s15, 0
.LBB6_97:                               ;   in Loop: Header=BB6_84 Depth=1
	global_load_b64 v[10:11], v3, s[10:11]
	s_add_co_i32 s15, s14, -8
.LBB6_98:                               ;   in Loop: Header=BB6_84 Depth=1
	s_wait_alu 0xfffe
	s_cmp_gt_u32 s15, 7
	s_cbranch_scc1 .LBB6_103
; %bb.99:                               ;   in Loop: Header=BB6_84 Depth=1
	v_mov_b32_e32 v12, 0
	v_mov_b32_e32 v13, 0
	s_cmp_eq_u32 s15, 0
	s_cbranch_scc1 .LBB6_102
; %bb.100:                              ;   in Loop: Header=BB6_84 Depth=1
	s_mov_b64 s[10:11], 0
	s_mov_b64 s[12:13], 0
.LBB6_101:                              ;   Parent Loop BB6_84 Depth=1
                                        ; =>  This Inner Loop Header: Depth=2
	s_wait_alu 0xfffe
	s_add_nc_u64 s[24:25], s[0:1], s[12:13]
	s_add_nc_u64 s[12:13], s[12:13], 1
	global_load_u8 v2, v3, s[24:25]
	s_wait_alu 0xfffe
	s_cmp_lg_u32 s15, s12
	s_wait_loadcnt 0x0
	v_and_b32_e32 v2, 0xffff, v2
	s_delay_alu instid0(VALU_DEP_1) | instskip(SKIP_1) | instid1(VALU_DEP_1)
	v_lshlrev_b64_e32 v[14:15], s10, v[2:3]
	s_add_nc_u64 s[10:11], s[10:11], 8
	v_or_b32_e32 v12, v14, v12
	s_delay_alu instid0(VALU_DEP_2)
	v_or_b32_e32 v13, v15, v13
	s_cbranch_scc1 .LBB6_101
.LBB6_102:                              ;   in Loop: Header=BB6_84 Depth=1
	s_mov_b64 s[10:11], s[0:1]
	s_mov_b32 s14, 0
	s_cbranch_execz .LBB6_104
	s_branch .LBB6_105
.LBB6_103:                              ;   in Loop: Header=BB6_84 Depth=1
	s_add_nc_u64 s[10:11], s[0:1], 8
	s_mov_b32 s14, 0
.LBB6_104:                              ;   in Loop: Header=BB6_84 Depth=1
	global_load_b64 v[12:13], v3, s[0:1]
	s_add_co_i32 s14, s15, -8
.LBB6_105:                              ;   in Loop: Header=BB6_84 Depth=1
	s_wait_alu 0xfffe
	s_cmp_gt_u32 s14, 7
	s_cbranch_scc1 .LBB6_110
; %bb.106:                              ;   in Loop: Header=BB6_84 Depth=1
	v_mov_b32_e32 v14, 0
	v_mov_b32_e32 v15, 0
	s_cmp_eq_u32 s14, 0
	s_cbranch_scc1 .LBB6_109
; %bb.107:                              ;   in Loop: Header=BB6_84 Depth=1
	s_mov_b64 s[0:1], 0
	s_mov_b64 s[12:13], 0
.LBB6_108:                              ;   Parent Loop BB6_84 Depth=1
                                        ; =>  This Inner Loop Header: Depth=2
	s_wait_alu 0xfffe
	s_add_nc_u64 s[24:25], s[10:11], s[12:13]
	s_add_nc_u64 s[12:13], s[12:13], 1
	global_load_u8 v2, v3, s[24:25]
	s_wait_alu 0xfffe
	s_cmp_lg_u32 s14, s12
	s_wait_loadcnt 0x0
	v_and_b32_e32 v2, 0xffff, v2
	s_delay_alu instid0(VALU_DEP_1) | instskip(SKIP_1) | instid1(VALU_DEP_1)
	v_lshlrev_b64_e32 v[16:17], s0, v[2:3]
	s_add_nc_u64 s[0:1], s[0:1], 8
	v_or_b32_e32 v14, v16, v14
	s_delay_alu instid0(VALU_DEP_2)
	v_or_b32_e32 v15, v17, v15
	s_cbranch_scc1 .LBB6_108
.LBB6_109:                              ;   in Loop: Header=BB6_84 Depth=1
	s_mov_b64 s[0:1], s[10:11]
	s_mov_b32 s15, 0
	s_cbranch_execz .LBB6_111
	s_branch .LBB6_112
.LBB6_110:                              ;   in Loop: Header=BB6_84 Depth=1
	s_add_nc_u64 s[0:1], s[10:11], 8
                                        ; implicit-def: $vgpr14_vgpr15
	s_mov_b32 s15, 0
.LBB6_111:                              ;   in Loop: Header=BB6_84 Depth=1
	global_load_b64 v[14:15], v3, s[10:11]
	s_add_co_i32 s15, s14, -8
.LBB6_112:                              ;   in Loop: Header=BB6_84 Depth=1
	s_wait_alu 0xfffe
	s_cmp_gt_u32 s15, 7
	s_cbranch_scc1 .LBB6_117
; %bb.113:                              ;   in Loop: Header=BB6_84 Depth=1
	v_mov_b32_e32 v16, 0
	v_mov_b32_e32 v17, 0
	s_cmp_eq_u32 s15, 0
	s_cbranch_scc1 .LBB6_116
; %bb.114:                              ;   in Loop: Header=BB6_84 Depth=1
	s_mov_b64 s[10:11], 0
	s_mov_b64 s[12:13], 0
.LBB6_115:                              ;   Parent Loop BB6_84 Depth=1
                                        ; =>  This Inner Loop Header: Depth=2
	s_wait_alu 0xfffe
	s_add_nc_u64 s[24:25], s[0:1], s[12:13]
	s_add_nc_u64 s[12:13], s[12:13], 1
	global_load_u8 v2, v3, s[24:25]
	s_wait_alu 0xfffe
	s_cmp_lg_u32 s15, s12
	s_wait_loadcnt 0x0
	v_and_b32_e32 v2, 0xffff, v2
	s_delay_alu instid0(VALU_DEP_1) | instskip(SKIP_1) | instid1(VALU_DEP_1)
	v_lshlrev_b64_e32 v[18:19], s10, v[2:3]
	s_add_nc_u64 s[10:11], s[10:11], 8
	v_or_b32_e32 v16, v18, v16
	s_delay_alu instid0(VALU_DEP_2)
	v_or_b32_e32 v17, v19, v17
	s_cbranch_scc1 .LBB6_115
.LBB6_116:                              ;   in Loop: Header=BB6_84 Depth=1
	s_mov_b64 s[10:11], s[0:1]
	s_mov_b32 s14, 0
	s_cbranch_execz .LBB6_118
	s_branch .LBB6_119
.LBB6_117:                              ;   in Loop: Header=BB6_84 Depth=1
	s_add_nc_u64 s[10:11], s[0:1], 8
	s_mov_b32 s14, 0
.LBB6_118:                              ;   in Loop: Header=BB6_84 Depth=1
	global_load_b64 v[16:17], v3, s[0:1]
	s_add_co_i32 s14, s15, -8
.LBB6_119:                              ;   in Loop: Header=BB6_84 Depth=1
	s_wait_alu 0xfffe
	s_cmp_gt_u32 s14, 7
	s_cbranch_scc1 .LBB6_124
; %bb.120:                              ;   in Loop: Header=BB6_84 Depth=1
	v_mov_b32_e32 v18, 0
	v_mov_b32_e32 v19, 0
	s_cmp_eq_u32 s14, 0
	s_cbranch_scc1 .LBB6_123
; %bb.121:                              ;   in Loop: Header=BB6_84 Depth=1
	s_mov_b64 s[0:1], 0
	s_mov_b64 s[12:13], 0
.LBB6_122:                              ;   Parent Loop BB6_84 Depth=1
                                        ; =>  This Inner Loop Header: Depth=2
	s_wait_alu 0xfffe
	s_add_nc_u64 s[24:25], s[10:11], s[12:13]
	s_add_nc_u64 s[12:13], s[12:13], 1
	global_load_u8 v2, v3, s[24:25]
	s_wait_alu 0xfffe
	s_cmp_lg_u32 s14, s12
	s_wait_loadcnt 0x0
	v_and_b32_e32 v2, 0xffff, v2
	s_delay_alu instid0(VALU_DEP_1) | instskip(SKIP_1) | instid1(VALU_DEP_1)
	v_lshlrev_b64_e32 v[20:21], s0, v[2:3]
	s_add_nc_u64 s[0:1], s[0:1], 8
	v_or_b32_e32 v18, v20, v18
	s_delay_alu instid0(VALU_DEP_2)
	v_or_b32_e32 v19, v21, v19
	s_cbranch_scc1 .LBB6_122
.LBB6_123:                              ;   in Loop: Header=BB6_84 Depth=1
	s_mov_b64 s[0:1], s[10:11]
	s_mov_b32 s15, 0
	s_cbranch_execz .LBB6_125
	s_branch .LBB6_126
.LBB6_124:                              ;   in Loop: Header=BB6_84 Depth=1
	s_add_nc_u64 s[0:1], s[10:11], 8
                                        ; implicit-def: $vgpr18_vgpr19
	s_mov_b32 s15, 0
.LBB6_125:                              ;   in Loop: Header=BB6_84 Depth=1
	global_load_b64 v[18:19], v3, s[10:11]
	s_add_co_i32 s15, s14, -8
.LBB6_126:                              ;   in Loop: Header=BB6_84 Depth=1
	s_wait_alu 0xfffe
	s_cmp_gt_u32 s15, 7
	s_cbranch_scc1 .LBB6_131
; %bb.127:                              ;   in Loop: Header=BB6_84 Depth=1
	v_mov_b32_e32 v20, 0
	v_mov_b32_e32 v21, 0
	s_cmp_eq_u32 s15, 0
	s_cbranch_scc1 .LBB6_130
; %bb.128:                              ;   in Loop: Header=BB6_84 Depth=1
	s_mov_b64 s[10:11], 0
	s_mov_b64 s[12:13], s[0:1]
.LBB6_129:                              ;   Parent Loop BB6_84 Depth=1
                                        ; =>  This Inner Loop Header: Depth=2
	global_load_u8 v2, v3, s[12:13]
	s_add_co_i32 s15, s15, -1
	s_wait_alu 0xfffe
	s_add_nc_u64 s[12:13], s[12:13], 1
	s_cmp_lg_u32 s15, 0
	s_wait_loadcnt 0x0
	v_and_b32_e32 v2, 0xffff, v2
	s_delay_alu instid0(VALU_DEP_1) | instskip(SKIP_1) | instid1(VALU_DEP_1)
	v_lshlrev_b64_e32 v[22:23], s10, v[2:3]
	s_add_nc_u64 s[10:11], s[10:11], 8
	v_or_b32_e32 v20, v22, v20
	s_delay_alu instid0(VALU_DEP_2)
	v_or_b32_e32 v21, v23, v21
	s_cbranch_scc1 .LBB6_129
.LBB6_130:                              ;   in Loop: Header=BB6_84 Depth=1
	s_cbranch_execz .LBB6_132
	s_branch .LBB6_133
.LBB6_131:                              ;   in Loop: Header=BB6_84 Depth=1
.LBB6_132:                              ;   in Loop: Header=BB6_84 Depth=1
	global_load_b64 v[20:21], v3, s[0:1]
.LBB6_133:                              ;   in Loop: Header=BB6_84 Depth=1
	v_readfirstlane_b32 s0, v31
	v_mov_b32_e32 v26, 0
	v_mov_b32_e32 v27, 0
	s_wait_alu 0xf1ff
	s_delay_alu instid0(VALU_DEP_3)
	v_cmp_eq_u32_e64 s0, s0, v31
	s_and_saveexec_b32 s1, s0
	s_cbranch_execz .LBB6_139
; %bb.134:                              ;   in Loop: Header=BB6_84 Depth=1
	global_load_b64 v[24:25], v3, s[2:3] offset:24 scope:SCOPE_SYS
	s_wait_loadcnt 0x0
	global_inv scope:SCOPE_SYS
	s_clause 0x1
	global_load_b64 v[22:23], v3, s[2:3] offset:40
	global_load_b64 v[26:27], v3, s[2:3]
	s_mov_b32 s10, exec_lo
	s_wait_loadcnt 0x1
	v_and_b32_e32 v2, v23, v25
	v_and_b32_e32 v22, v22, v24
	s_delay_alu instid0(VALU_DEP_2) | instskip(NEXT) | instid1(VALU_DEP_2)
	v_mul_lo_u32 v2, 24, v2
	v_mul_lo_u32 v23, 0, v22
	v_mul_hi_u32 v28, 24, v22
	v_mul_lo_u32 v22, 24, v22
	s_delay_alu instid0(VALU_DEP_3) | instskip(SKIP_1) | instid1(VALU_DEP_2)
	v_add_nc_u32_e32 v2, v2, v23
	s_wait_loadcnt 0x0
	v_add_co_u32 v22, vcc_lo, v26, v22
	s_delay_alu instid0(VALU_DEP_2) | instskip(SKIP_1) | instid1(VALU_DEP_1)
	v_add_nc_u32_e32 v2, v2, v28
	s_wait_alu 0xfffd
	v_add_co_ci_u32_e64 v23, null, v27, v2, vcc_lo
	global_load_b64 v[22:23], v[22:23], off scope:SCOPE_SYS
	s_wait_loadcnt 0x0
	global_atomic_cmpswap_b64 v[26:27], v3, v[22:25], s[2:3] offset:24 th:TH_ATOMIC_RETURN scope:SCOPE_SYS
	s_wait_loadcnt 0x0
	global_inv scope:SCOPE_SYS
	v_cmpx_ne_u64_e64 v[26:27], v[24:25]
	s_cbranch_execz .LBB6_138
; %bb.135:                              ;   in Loop: Header=BB6_84 Depth=1
	s_mov_b32 s11, 0
.LBB6_136:                              ;   Parent Loop BB6_84 Depth=1
                                        ; =>  This Inner Loop Header: Depth=2
	s_sleep 1
	s_clause 0x1
	global_load_b64 v[22:23], v3, s[2:3] offset:40
	global_load_b64 v[28:29], v3, s[2:3]
	v_dual_mov_b32 v24, v26 :: v_dual_mov_b32 v25, v27
	s_wait_loadcnt 0x1
	s_delay_alu instid0(VALU_DEP_1) | instskip(NEXT) | instid1(VALU_DEP_2)
	v_and_b32_e32 v2, v22, v24
	v_and_b32_e32 v22, v23, v25
	s_wait_loadcnt 0x0
	s_delay_alu instid0(VALU_DEP_2) | instskip(NEXT) | instid1(VALU_DEP_1)
	v_mad_co_u64_u32 v[26:27], null, v2, 24, v[28:29]
	v_mov_b32_e32 v2, v27
	s_delay_alu instid0(VALU_DEP_1) | instskip(NEXT) | instid1(VALU_DEP_1)
	v_mad_co_u64_u32 v[22:23], null, v22, 24, v[2:3]
	v_mov_b32_e32 v27, v22
	global_load_b64 v[22:23], v[26:27], off scope:SCOPE_SYS
	s_wait_loadcnt 0x0
	global_atomic_cmpswap_b64 v[26:27], v3, v[22:25], s[2:3] offset:24 th:TH_ATOMIC_RETURN scope:SCOPE_SYS
	s_wait_loadcnt 0x0
	global_inv scope:SCOPE_SYS
	v_cmp_eq_u64_e32 vcc_lo, v[26:27], v[24:25]
	s_wait_alu 0xfffe
	s_or_b32 s11, vcc_lo, s11
	s_wait_alu 0xfffe
	s_and_not1_b32 exec_lo, exec_lo, s11
	s_cbranch_execnz .LBB6_136
; %bb.137:                              ;   in Loop: Header=BB6_84 Depth=1
	s_or_b32 exec_lo, exec_lo, s11
.LBB6_138:                              ;   in Loop: Header=BB6_84 Depth=1
	s_wait_alu 0xfffe
	s_or_b32 exec_lo, exec_lo, s10
.LBB6_139:                              ;   in Loop: Header=BB6_84 Depth=1
	s_wait_alu 0xfffe
	s_or_b32 exec_lo, exec_lo, s1
	s_clause 0x1
	global_load_b64 v[28:29], v3, s[2:3] offset:40
	global_load_b128 v[22:25], v3, s[2:3]
	v_readfirstlane_b32 s11, v27
	v_readfirstlane_b32 s10, v26
	s_mov_b32 s1, exec_lo
	s_wait_loadcnt 0x1
	s_wait_alu 0xf1ff
	v_and_b32_e32 v29, s11, v29
	v_and_b32_e32 v28, s10, v28
	s_delay_alu instid0(VALU_DEP_2) | instskip(NEXT) | instid1(VALU_DEP_2)
	v_mul_lo_u32 v2, 24, v29
	v_mul_lo_u32 v26, 0, v28
	v_mul_hi_u32 v27, 24, v28
	v_mul_lo_u32 v32, 24, v28
	s_delay_alu instid0(VALU_DEP_3) | instskip(SKIP_1) | instid1(VALU_DEP_2)
	v_add_nc_u32_e32 v2, v2, v26
	s_wait_loadcnt 0x0
	v_add_co_u32 v26, vcc_lo, v22, v32
	s_delay_alu instid0(VALU_DEP_2) | instskip(SKIP_1) | instid1(VALU_DEP_1)
	v_add_nc_u32_e32 v2, v2, v27
	s_wait_alu 0xfffd
	v_add_co_ci_u32_e64 v27, null, v23, v2, vcc_lo
	s_and_saveexec_b32 s12, s0
	s_cbranch_execz .LBB6_141
; %bb.140:                              ;   in Loop: Header=BB6_84 Depth=1
	s_wait_alu 0xfffe
	v_mov_b32_e32 v2, s1
	global_store_b128 v[26:27], v[2:5], off offset:8
.LBB6_141:                              ;   in Loop: Header=BB6_84 Depth=1
	s_wait_alu 0xfffe
	s_or_b32 exec_lo, exec_lo, s12
	v_cmp_gt_u64_e64 s1, s[6:7], 56
	v_lshlrev_b64_e32 v[28:29], 12, v[28:29]
	v_and_b32_e32 v2, 0xffffff1f, v6
	s_and_b32 s1, s1, exec_lo
	s_delay_alu instid0(VALU_DEP_2)
	v_add_co_u32 v24, vcc_lo, v24, v28
	s_cselect_b32 s1, 0, 2
	s_wait_alu 0xfffd
	v_add_co_ci_u32_e64 v25, null, v25, v29, vcc_lo
	s_wait_alu 0xfffe
	v_or_b32_e32 v2, s1, v2
	s_lshl_b32 s12, s8, 2
	s_wait_alu 0xfffe
	s_add_co_i32 s1, s12, 28
	v_readfirstlane_b32 s12, v24
	v_readfirstlane_b32 s13, v25
	s_wait_alu 0xfffe
	v_and_or_b32 v6, 0x1e0, s1, v2
	s_clause 0x3
	global_store_b128 v30, v[6:9], s[12:13]
	global_store_b128 v30, v[10:13], s[12:13] offset:16
	global_store_b128 v30, v[14:17], s[12:13] offset:32
	;; [unrolled: 1-line block ×3, first 2 shown]
	s_and_saveexec_b32 s1, s0
	s_cbranch_execz .LBB6_149
; %bb.142:                              ;   in Loop: Header=BB6_84 Depth=1
	s_clause 0x1
	global_load_b64 v[14:15], v3, s[2:3] offset:32 scope:SCOPE_SYS
	global_load_b64 v[6:7], v3, s[2:3] offset:40
	v_mov_b32_e32 v12, s10
	s_mov_b32 s12, exec_lo
	s_wait_loadcnt 0x0
	v_dual_mov_b32 v13, s11 :: v_dual_and_b32 v2, s11, v7
	v_and_b32_e32 v6, s10, v6
	s_delay_alu instid0(VALU_DEP_2) | instskip(NEXT) | instid1(VALU_DEP_2)
	v_mul_lo_u32 v2, 24, v2
	v_mul_lo_u32 v7, 0, v6
	v_mul_hi_u32 v8, 24, v6
	v_mul_lo_u32 v6, 24, v6
	s_delay_alu instid0(VALU_DEP_3) | instskip(NEXT) | instid1(VALU_DEP_2)
	v_add_nc_u32_e32 v2, v2, v7
	v_add_co_u32 v10, vcc_lo, v22, v6
	s_delay_alu instid0(VALU_DEP_2) | instskip(SKIP_1) | instid1(VALU_DEP_1)
	v_add_nc_u32_e32 v2, v2, v8
	s_wait_alu 0xfffd
	v_add_co_ci_u32_e64 v11, null, v23, v2, vcc_lo
	global_store_b64 v[10:11], v[14:15], off
	global_wb scope:SCOPE_SYS
	s_wait_storecnt 0x0
	global_atomic_cmpswap_b64 v[8:9], v3, v[12:15], s[2:3] offset:32 th:TH_ATOMIC_RETURN scope:SCOPE_SYS
	s_wait_loadcnt 0x0
	v_cmpx_ne_u64_e64 v[8:9], v[14:15]
	s_cbranch_execz .LBB6_145
; %bb.143:                              ;   in Loop: Header=BB6_84 Depth=1
	s_mov_b32 s13, 0
.LBB6_144:                              ;   Parent Loop BB6_84 Depth=1
                                        ; =>  This Inner Loop Header: Depth=2
	v_dual_mov_b32 v6, s10 :: v_dual_mov_b32 v7, s11
	s_sleep 1
	global_store_b64 v[10:11], v[8:9], off
	global_wb scope:SCOPE_SYS
	s_wait_storecnt 0x0
	global_atomic_cmpswap_b64 v[6:7], v3, v[6:9], s[2:3] offset:32 th:TH_ATOMIC_RETURN scope:SCOPE_SYS
	s_wait_loadcnt 0x0
	v_cmp_eq_u64_e32 vcc_lo, v[6:7], v[8:9]
	v_dual_mov_b32 v9, v7 :: v_dual_mov_b32 v8, v6
	s_wait_alu 0xfffe
	s_or_b32 s13, vcc_lo, s13
	s_wait_alu 0xfffe
	s_and_not1_b32 exec_lo, exec_lo, s13
	s_cbranch_execnz .LBB6_144
.LBB6_145:                              ;   in Loop: Header=BB6_84 Depth=1
	s_wait_alu 0xfffe
	s_or_b32 exec_lo, exec_lo, s12
	global_load_b64 v[6:7], v3, s[2:3] offset:16
	s_mov_b32 s13, exec_lo
	s_mov_b32 s12, exec_lo
	s_wait_alu 0xfffe
	v_mbcnt_lo_u32_b32 v2, s13, 0
	s_delay_alu instid0(VALU_DEP_1)
	v_cmpx_eq_u32_e32 0, v2
	s_cbranch_execz .LBB6_147
; %bb.146:                              ;   in Loop: Header=BB6_84 Depth=1
	s_bcnt1_i32_b32 s13, s13
	s_wait_alu 0xfffe
	v_mov_b32_e32 v2, s13
	global_wb scope:SCOPE_SYS
	s_wait_loadcnt 0x0
	s_wait_storecnt 0x0
	global_atomic_add_u64 v[6:7], v[2:3], off offset:8 scope:SCOPE_SYS
.LBB6_147:                              ;   in Loop: Header=BB6_84 Depth=1
	s_or_b32 exec_lo, exec_lo, s12
	s_wait_loadcnt 0x0
	global_load_b64 v[8:9], v[6:7], off offset:16
	s_wait_loadcnt 0x0
	v_cmp_eq_u64_e32 vcc_lo, 0, v[8:9]
	s_cbranch_vccnz .LBB6_149
; %bb.148:                              ;   in Loop: Header=BB6_84 Depth=1
	global_load_b32 v2, v[6:7], off offset:24
	s_wait_loadcnt 0x0
	v_readfirstlane_b32 s12, v2
	global_wb scope:SCOPE_SYS
	s_wait_storecnt 0x0
	global_store_b64 v[8:9], v[2:3], off scope:SCOPE_SYS
	s_and_b32 m0, s12, 0xffffff
	s_sendmsg sendmsg(MSG_INTERRUPT)
.LBB6_149:                              ;   in Loop: Header=BB6_84 Depth=1
	s_wait_alu 0xfffe
	s_or_b32 exec_lo, exec_lo, s1
	v_add_co_u32 v6, vcc_lo, v24, v30
	s_wait_alu 0xfffd
	v_add_co_ci_u32_e64 v7, null, 0, v25, vcc_lo
	s_branch .LBB6_153
.LBB6_150:                              ;   in Loop: Header=BB6_153 Depth=2
	s_wait_alu 0xfffe
	s_or_b32 exec_lo, exec_lo, s1
	s_delay_alu instid0(VALU_DEP_1)
	v_readfirstlane_b32 s1, v2
	s_cmp_eq_u32 s1, 0
	s_cbranch_scc1 .LBB6_152
; %bb.151:                              ;   in Loop: Header=BB6_153 Depth=2
	s_sleep 1
	s_cbranch_execnz .LBB6_153
	s_branch .LBB6_155
.LBB6_152:                              ;   in Loop: Header=BB6_84 Depth=1
	s_branch .LBB6_155
.LBB6_153:                              ;   Parent Loop BB6_84 Depth=1
                                        ; =>  This Inner Loop Header: Depth=2
	v_mov_b32_e32 v2, 1
	s_and_saveexec_b32 s1, s0
	s_cbranch_execz .LBB6_150
; %bb.154:                              ;   in Loop: Header=BB6_153 Depth=2
	global_load_b32 v2, v[26:27], off offset:20 scope:SCOPE_SYS
	s_wait_loadcnt 0x0
	global_inv scope:SCOPE_SYS
	v_and_b32_e32 v2, 1, v2
	s_branch .LBB6_150
.LBB6_155:                              ;   in Loop: Header=BB6_84 Depth=1
	global_load_b128 v[6:9], v[6:7], off
	s_and_saveexec_b32 s12, s0
	s_cbranch_execz .LBB6_83
; %bb.156:                              ;   in Loop: Header=BB6_84 Depth=1
	s_wait_loadcnt 0x0
	s_clause 0x2
	global_load_b64 v[8:9], v3, s[2:3] offset:40
	global_load_b64 v[16:17], v3, s[2:3] offset:24 scope:SCOPE_SYS
	global_load_b64 v[10:11], v3, s[2:3]
	s_wait_loadcnt 0x2
	v_readfirstlane_b32 s14, v8
	v_readfirstlane_b32 s15, v9
	s_add_nc_u64 s[0:1], s[14:15], 1
	s_wait_alu 0xfffe
	s_add_nc_u64 s[10:11], s[0:1], s[10:11]
	s_wait_alu 0xfffe
	s_cmp_eq_u64 s[10:11], 0
	s_cselect_b32 s1, s1, s11
	s_cselect_b32 s0, s0, s10
	s_wait_alu 0xfffe
	v_dual_mov_b32 v15, s1 :: v_dual_mov_b32 v14, s0
	s_and_b64 s[10:11], s[0:1], s[14:15]
	s_wait_alu 0xfffe
	s_mul_u64 s[10:11], s[10:11], 24
	s_wait_loadcnt 0x0
	s_wait_alu 0xfffe
	v_add_co_u32 v12, vcc_lo, v10, s10
	s_wait_alu 0xfffd
	v_add_co_ci_u32_e64 v13, null, s11, v11, vcc_lo
	global_store_b64 v[12:13], v[16:17], off
	global_wb scope:SCOPE_SYS
	s_wait_storecnt 0x0
	global_atomic_cmpswap_b64 v[10:11], v3, v[14:17], s[2:3] offset:24 th:TH_ATOMIC_RETURN scope:SCOPE_SYS
	s_wait_loadcnt 0x0
	v_cmp_ne_u64_e32 vcc_lo, v[10:11], v[16:17]
	s_and_b32 exec_lo, exec_lo, vcc_lo
	s_cbranch_execz .LBB6_83
; %bb.157:                              ;   in Loop: Header=BB6_84 Depth=1
	s_mov_b32 s10, 0
.LBB6_158:                              ;   Parent Loop BB6_84 Depth=1
                                        ; =>  This Inner Loop Header: Depth=2
	v_dual_mov_b32 v8, s0 :: v_dual_mov_b32 v9, s1
	s_sleep 1
	global_store_b64 v[12:13], v[10:11], off
	global_wb scope:SCOPE_SYS
	s_wait_storecnt 0x0
	global_atomic_cmpswap_b64 v[8:9], v3, v[8:11], s[2:3] offset:24 th:TH_ATOMIC_RETURN scope:SCOPE_SYS
	s_wait_loadcnt 0x0
	v_cmp_eq_u64_e32 vcc_lo, v[8:9], v[10:11]
	v_dual_mov_b32 v11, v9 :: v_dual_mov_b32 v10, v8
	s_wait_alu 0xfffe
	s_or_b32 s10, vcc_lo, s10
	s_wait_alu 0xfffe
	s_and_not1_b32 exec_lo, exec_lo, s10
	s_cbranch_execnz .LBB6_158
	s_branch .LBB6_83
.LBB6_159:
	s_mov_b32 s0, 0
	s_branch .LBB6_161
.LBB6_160:
	s_mov_b32 s0, -1
.LBB6_161:
	s_wait_alu 0xfffe
	s_and_b32 vcc_lo, exec_lo, s0
	s_wait_alu 0xfffe
	s_cbranch_vccz .LBB6_189
; %bb.162:
	v_readfirstlane_b32 s0, v31
	s_wait_loadcnt 0x0
	v_mov_b32_e32 v8, 0
	v_mov_b32_e32 v9, 0
	s_wait_alu 0xf1ff
	v_cmp_eq_u32_e64 s0, s0, v31
	s_and_saveexec_b32 s1, s0
	s_cbranch_execz .LBB6_168
; %bb.163:
	v_mov_b32_e32 v2, 0
	s_mov_b32 s4, exec_lo
	global_load_b64 v[5:6], v2, s[2:3] offset:24 scope:SCOPE_SYS
	s_wait_loadcnt 0x0
	global_inv scope:SCOPE_SYS
	s_clause 0x1
	global_load_b64 v[3:4], v2, s[2:3] offset:40
	global_load_b64 v[7:8], v2, s[2:3]
	s_wait_loadcnt 0x1
	v_and_b32_e32 v4, v4, v6
	v_and_b32_e32 v3, v3, v5
	s_delay_alu instid0(VALU_DEP_2) | instskip(NEXT) | instid1(VALU_DEP_2)
	v_mul_lo_u32 v4, 24, v4
	v_mul_lo_u32 v9, 0, v3
	v_mul_hi_u32 v10, 24, v3
	v_mul_lo_u32 v3, 24, v3
	s_delay_alu instid0(VALU_DEP_3) | instskip(SKIP_1) | instid1(VALU_DEP_2)
	v_add_nc_u32_e32 v4, v4, v9
	s_wait_loadcnt 0x0
	v_add_co_u32 v3, vcc_lo, v7, v3
	s_delay_alu instid0(VALU_DEP_2) | instskip(SKIP_1) | instid1(VALU_DEP_1)
	v_add_nc_u32_e32 v4, v4, v10
	s_wait_alu 0xfffd
	v_add_co_ci_u32_e64 v4, null, v8, v4, vcc_lo
	global_load_b64 v[3:4], v[3:4], off scope:SCOPE_SYS
	s_wait_loadcnt 0x0
	global_atomic_cmpswap_b64 v[8:9], v2, v[3:6], s[2:3] offset:24 th:TH_ATOMIC_RETURN scope:SCOPE_SYS
	s_wait_loadcnt 0x0
	global_inv scope:SCOPE_SYS
	v_cmpx_ne_u64_e64 v[8:9], v[5:6]
	s_cbranch_execz .LBB6_167
; %bb.164:
	s_mov_b32 s5, 0
.LBB6_165:                              ; =>This Inner Loop Header: Depth=1
	s_sleep 1
	s_clause 0x1
	global_load_b64 v[3:4], v2, s[2:3] offset:40
	global_load_b64 v[10:11], v2, s[2:3]
	v_dual_mov_b32 v5, v8 :: v_dual_mov_b32 v6, v9
	s_wait_loadcnt 0x1
	s_delay_alu instid0(VALU_DEP_1) | instskip(NEXT) | instid1(VALU_DEP_2)
	v_and_b32_e32 v3, v3, v5
	v_and_b32_e32 v4, v4, v6
	s_wait_loadcnt 0x0
	s_delay_alu instid0(VALU_DEP_2) | instskip(NEXT) | instid1(VALU_DEP_1)
	v_mad_co_u64_u32 v[7:8], null, v3, 24, v[10:11]
	v_mov_b32_e32 v3, v8
	s_delay_alu instid0(VALU_DEP_1) | instskip(NEXT) | instid1(VALU_DEP_1)
	v_mad_co_u64_u32 v[3:4], null, v4, 24, v[3:4]
	v_mov_b32_e32 v8, v3
	global_load_b64 v[3:4], v[7:8], off scope:SCOPE_SYS
	s_wait_loadcnt 0x0
	global_atomic_cmpswap_b64 v[8:9], v2, v[3:6], s[2:3] offset:24 th:TH_ATOMIC_RETURN scope:SCOPE_SYS
	s_wait_loadcnt 0x0
	global_inv scope:SCOPE_SYS
	v_cmp_eq_u64_e32 vcc_lo, v[8:9], v[5:6]
	s_wait_alu 0xfffe
	s_or_b32 s5, vcc_lo, s5
	s_wait_alu 0xfffe
	s_and_not1_b32 exec_lo, exec_lo, s5
	s_cbranch_execnz .LBB6_165
; %bb.166:
	s_or_b32 exec_lo, exec_lo, s5
.LBB6_167:
	s_wait_alu 0xfffe
	s_or_b32 exec_lo, exec_lo, s4
.LBB6_168:
	s_wait_alu 0xfffe
	s_or_b32 exec_lo, exec_lo, s1
	v_readfirstlane_b32 s5, v9
	v_mov_b32_e32 v2, 0
	v_readfirstlane_b32 s4, v8
	s_mov_b32 s1, exec_lo
	s_clause 0x1
	global_load_b64 v[10:11], v2, s[2:3] offset:40
	global_load_b128 v[4:7], v2, s[2:3]
	s_wait_loadcnt 0x1
	s_wait_alu 0xf1ff
	v_and_b32_e32 v11, s5, v11
	v_and_b32_e32 v10, s4, v10
	s_delay_alu instid0(VALU_DEP_2) | instskip(NEXT) | instid1(VALU_DEP_2)
	v_mul_lo_u32 v3, 24, v11
	v_mul_lo_u32 v8, 0, v10
	v_mul_hi_u32 v9, 24, v10
	v_mul_lo_u32 v12, 24, v10
	s_delay_alu instid0(VALU_DEP_3) | instskip(SKIP_1) | instid1(VALU_DEP_2)
	v_add_nc_u32_e32 v3, v3, v8
	s_wait_loadcnt 0x0
	v_add_co_u32 v8, vcc_lo, v4, v12
	s_delay_alu instid0(VALU_DEP_2) | instskip(SKIP_1) | instid1(VALU_DEP_1)
	v_add_nc_u32_e32 v3, v3, v9
	s_wait_alu 0xfffd
	v_add_co_ci_u32_e64 v9, null, v5, v3, vcc_lo
	s_and_saveexec_b32 s6, s0
	s_cbranch_execz .LBB6_170
; %bb.169:
	s_wait_alu 0xfffe
	v_dual_mov_b32 v12, s1 :: v_dual_mov_b32 v13, v2
	v_dual_mov_b32 v14, 2 :: v_dual_mov_b32 v15, 1
	global_store_b128 v[8:9], v[12:15], off offset:8
.LBB6_170:
	s_wait_alu 0xfffe
	s_or_b32 exec_lo, exec_lo, s6
	v_lshlrev_b64_e32 v[10:11], 12, v[10:11]
	s_mov_b32 s8, 0
	v_and_or_b32 v0, 0xffffff1d, v0, 34
	s_wait_alu 0xfffe
	s_mov_b32 s11, s8
	s_mov_b32 s9, s8
	;; [unrolled: 1-line block ×3, first 2 shown]
	v_add_co_u32 v6, vcc_lo, v6, v10
	s_wait_alu 0xfffd
	v_add_co_ci_u32_e64 v7, null, v7, v11, vcc_lo
	v_mov_b32_e32 v3, v2
	s_delay_alu instid0(VALU_DEP_3)
	v_readfirstlane_b32 s6, v6
	s_wait_alu 0xfffe
	v_dual_mov_b32 v13, s11 :: v_dual_mov_b32 v10, s8
	v_readfirstlane_b32 s7, v7
	v_dual_mov_b32 v12, s10 :: v_dual_mov_b32 v11, s9
	s_clause 0x3
	global_store_b128 v30, v[0:3], s[6:7]
	global_store_b128 v30, v[10:13], s[6:7] offset:16
	global_store_b128 v30, v[10:13], s[6:7] offset:32
	;; [unrolled: 1-line block ×3, first 2 shown]
	s_and_saveexec_b32 s1, s0
	s_cbranch_execz .LBB6_178
; %bb.171:
	v_mov_b32_e32 v6, 0
	s_mov_b32 s6, exec_lo
	s_clause 0x1
	global_load_b64 v[12:13], v6, s[2:3] offset:32 scope:SCOPE_SYS
	global_load_b64 v[0:1], v6, s[2:3] offset:40
	v_dual_mov_b32 v11, s5 :: v_dual_mov_b32 v10, s4
	s_wait_loadcnt 0x0
	v_and_b32_e32 v1, s5, v1
	v_and_b32_e32 v0, s4, v0
	s_delay_alu instid0(VALU_DEP_2) | instskip(NEXT) | instid1(VALU_DEP_2)
	v_mul_lo_u32 v1, 24, v1
	v_mul_lo_u32 v2, 0, v0
	v_mul_hi_u32 v3, 24, v0
	v_mul_lo_u32 v0, 24, v0
	s_delay_alu instid0(VALU_DEP_3) | instskip(NEXT) | instid1(VALU_DEP_2)
	v_add_nc_u32_e32 v1, v1, v2
	v_add_co_u32 v4, vcc_lo, v4, v0
	s_delay_alu instid0(VALU_DEP_2) | instskip(SKIP_1) | instid1(VALU_DEP_1)
	v_add_nc_u32_e32 v1, v1, v3
	s_wait_alu 0xfffd
	v_add_co_ci_u32_e64 v5, null, v5, v1, vcc_lo
	global_store_b64 v[4:5], v[12:13], off
	global_wb scope:SCOPE_SYS
	s_wait_storecnt 0x0
	global_atomic_cmpswap_b64 v[2:3], v6, v[10:13], s[2:3] offset:32 th:TH_ATOMIC_RETURN scope:SCOPE_SYS
	s_wait_loadcnt 0x0
	v_cmpx_ne_u64_e64 v[2:3], v[12:13]
	s_cbranch_execz .LBB6_174
; %bb.172:
	s_mov_b32 s7, 0
.LBB6_173:                              ; =>This Inner Loop Header: Depth=1
	v_dual_mov_b32 v0, s4 :: v_dual_mov_b32 v1, s5
	s_sleep 1
	global_store_b64 v[4:5], v[2:3], off
	global_wb scope:SCOPE_SYS
	s_wait_storecnt 0x0
	global_atomic_cmpswap_b64 v[0:1], v6, v[0:3], s[2:3] offset:32 th:TH_ATOMIC_RETURN scope:SCOPE_SYS
	s_wait_loadcnt 0x0
	v_cmp_eq_u64_e32 vcc_lo, v[0:1], v[2:3]
	v_dual_mov_b32 v3, v1 :: v_dual_mov_b32 v2, v0
	s_wait_alu 0xfffe
	s_or_b32 s7, vcc_lo, s7
	s_wait_alu 0xfffe
	s_and_not1_b32 exec_lo, exec_lo, s7
	s_cbranch_execnz .LBB6_173
.LBB6_174:
	s_wait_alu 0xfffe
	s_or_b32 exec_lo, exec_lo, s6
	v_mov_b32_e32 v3, 0
	s_mov_b32 s7, exec_lo
	s_mov_b32 s6, exec_lo
	s_wait_alu 0xfffe
	v_mbcnt_lo_u32_b32 v2, s7, 0
	global_load_b64 v[0:1], v3, s[2:3] offset:16
	v_cmpx_eq_u32_e32 0, v2
	s_cbranch_execz .LBB6_176
; %bb.175:
	s_bcnt1_i32_b32 s7, s7
	s_wait_alu 0xfffe
	v_mov_b32_e32 v2, s7
	global_wb scope:SCOPE_SYS
	s_wait_loadcnt 0x0
	s_wait_storecnt 0x0
	global_atomic_add_u64 v[0:1], v[2:3], off offset:8 scope:SCOPE_SYS
.LBB6_176:
	s_or_b32 exec_lo, exec_lo, s6
	s_wait_loadcnt 0x0
	global_load_b64 v[2:3], v[0:1], off offset:16
	s_wait_loadcnt 0x0
	v_cmp_eq_u64_e32 vcc_lo, 0, v[2:3]
	s_cbranch_vccnz .LBB6_178
; %bb.177:
	global_load_b32 v0, v[0:1], off offset:24
	v_mov_b32_e32 v1, 0
	s_wait_loadcnt 0x0
	v_readfirstlane_b32 s6, v0
	global_wb scope:SCOPE_SYS
	s_wait_storecnt 0x0
	global_store_b64 v[2:3], v[0:1], off scope:SCOPE_SYS
	s_and_b32 m0, s6, 0xffffff
	s_sendmsg sendmsg(MSG_INTERRUPT)
.LBB6_178:
	s_wait_alu 0xfffe
	s_or_b32 exec_lo, exec_lo, s1
	s_branch .LBB6_182
.LBB6_179:                              ;   in Loop: Header=BB6_182 Depth=1
	s_wait_alu 0xfffe
	s_or_b32 exec_lo, exec_lo, s1
	s_delay_alu instid0(VALU_DEP_1)
	v_readfirstlane_b32 s1, v0
	s_cmp_eq_u32 s1, 0
	s_cbranch_scc1 .LBB6_181
; %bb.180:                              ;   in Loop: Header=BB6_182 Depth=1
	s_sleep 1
	s_cbranch_execnz .LBB6_182
	s_branch .LBB6_184
.LBB6_181:
	s_branch .LBB6_184
.LBB6_182:                              ; =>This Inner Loop Header: Depth=1
	v_mov_b32_e32 v0, 1
	s_and_saveexec_b32 s1, s0
	s_cbranch_execz .LBB6_179
; %bb.183:                              ;   in Loop: Header=BB6_182 Depth=1
	global_load_b32 v0, v[8:9], off offset:20 scope:SCOPE_SYS
	s_wait_loadcnt 0x0
	global_inv scope:SCOPE_SYS
	v_and_b32_e32 v0, 1, v0
	s_branch .LBB6_179
.LBB6_184:
	s_and_saveexec_b32 s6, s0
	s_cbranch_execz .LBB6_188
; %bb.185:
	v_mov_b32_e32 v6, 0
	s_clause 0x2
	global_load_b64 v[0:1], v6, s[2:3] offset:40
	global_load_b64 v[9:10], v6, s[2:3] offset:24 scope:SCOPE_SYS
	global_load_b64 v[2:3], v6, s[2:3]
	s_wait_loadcnt 0x2
	v_readfirstlane_b32 s8, v0
	v_readfirstlane_b32 s9, v1
	s_add_nc_u64 s[0:1], s[8:9], 1
	s_wait_alu 0xfffe
	s_add_nc_u64 s[4:5], s[0:1], s[4:5]
	s_wait_alu 0xfffe
	s_cmp_eq_u64 s[4:5], 0
	s_cselect_b32 s1, s1, s5
	s_cselect_b32 s0, s0, s4
	s_wait_alu 0xfffe
	v_mov_b32_e32 v8, s1
	s_and_b64 s[4:5], s[0:1], s[8:9]
	v_mov_b32_e32 v7, s0
	s_wait_alu 0xfffe
	s_mul_u64 s[4:5], s[4:5], 24
	s_wait_loadcnt 0x0
	s_wait_alu 0xfffe
	v_add_co_u32 v4, vcc_lo, v2, s4
	s_wait_alu 0xfffd
	v_add_co_ci_u32_e64 v5, null, s5, v3, vcc_lo
	global_store_b64 v[4:5], v[9:10], off
	global_wb scope:SCOPE_SYS
	s_wait_storecnt 0x0
	global_atomic_cmpswap_b64 v[2:3], v6, v[7:10], s[2:3] offset:24 th:TH_ATOMIC_RETURN scope:SCOPE_SYS
	s_wait_loadcnt 0x0
	v_cmp_ne_u64_e32 vcc_lo, v[2:3], v[9:10]
	s_and_b32 exec_lo, exec_lo, vcc_lo
	s_cbranch_execz .LBB6_188
; %bb.186:
	s_mov_b32 s4, 0
.LBB6_187:                              ; =>This Inner Loop Header: Depth=1
	v_dual_mov_b32 v0, s0 :: v_dual_mov_b32 v1, s1
	s_sleep 1
	global_store_b64 v[4:5], v[2:3], off
	global_wb scope:SCOPE_SYS
	s_wait_storecnt 0x0
	global_atomic_cmpswap_b64 v[0:1], v6, v[0:3], s[2:3] offset:24 th:TH_ATOMIC_RETURN scope:SCOPE_SYS
	s_wait_loadcnt 0x0
	v_cmp_eq_u64_e32 vcc_lo, v[0:1], v[2:3]
	v_dual_mov_b32 v3, v1 :: v_dual_mov_b32 v2, v0
	s_wait_alu 0xfffe
	s_or_b32 s4, vcc_lo, s4
	s_wait_alu 0xfffe
	s_and_not1_b32 exec_lo, exec_lo, s4
	s_cbranch_execnz .LBB6_187
.LBB6_188:
	s_wait_alu 0xfffe
	s_or_b32 exec_lo, exec_lo, s6
.LBB6_189:
	s_getpc_b64 s[0:1]
	s_wait_alu 0xfffe
	s_sext_i32_i16 s1, s1
	s_add_co_u32 s0, s0, .str.29@rel32@lo+12
	s_wait_alu 0xfffe
	s_add_co_ci_u32 s1, s1, .str.29@rel32@hi+24
	s_getpc_b64 s[2:3]
	s_wait_alu 0xfffe
	s_sext_i32_i16 s3, s3
	s_add_co_u32 s2, s2, .str.19@rel32@lo+12
	s_wait_alu 0xfffe
	s_add_co_ci_u32 s3, s3, .str.19@rel32@hi+24
	s_getpc_b64 s[4:5]
	s_wait_alu 0xfffe
	s_sext_i32_i16 s5, s5
	s_add_co_u32 s4, s4, __PRETTY_FUNCTION__._ZN7VecsMemIjLi8192EE5fetchEi@rel32@lo+12
	s_wait_alu 0xfffe
	s_add_co_ci_u32 s5, s5, __PRETTY_FUNCTION__._ZN7VecsMemIjLi8192EE5fetchEi@rel32@hi+24
	s_wait_loadcnt 0x0
	v_dual_mov_b32 v0, s0 :: v_dual_mov_b32 v1, s1
	v_dual_mov_b32 v2, s2 :: v_dual_mov_b32 v3, s3
	;; [unrolled: 1-line block ×3, first 2 shown]
	s_wait_alu 0xfffe
	v_mov_b32_e32 v6, s5
	s_getpc_b64 s[6:7]
	s_wait_alu 0xfffe
	s_sext_i32_i16 s7, s7
	s_add_co_u32 s6, s6, __assert_fail@rel32@lo+12
	s_wait_alu 0xfffe
	s_add_co_ci_u32 s7, s7, __assert_fail@rel32@hi+24
	s_mov_b64 s[8:9], s[52:53]
	s_wait_alu 0xfffe
	s_swappc_b64 s[30:31], s[6:7]
	s_or_b32 s0, s64, exec_lo
.LBB6_190:
	s_or_b32 exec_lo, exec_lo, s18
	s_delay_alu instid0(SALU_CYCLE_1)
	s_and_not1_b32 s1, s64, exec_lo
	s_wait_alu 0xfffe
	s_and_b32 s0, s0, exec_lo
	s_wait_alu 0xfffe
	s_or_b32 s18, s1, s0
	s_or_not1_b32 s1, s23, exec_lo
.LBB6_191:
	s_wait_alu 0xfffe
	s_or_b32 exec_lo, exec_lo, s19
	s_mov_b32 s0, 0
                                        ; implicit-def: $vgpr68
                                        ; implicit-def: $vgpr64_vgpr65
	s_and_saveexec_b32 s19, s1
	s_cbranch_execz .LBB6_398
; %bb.192:
	flat_load_b64 v[64:65], v[54:55] offset:8
	v_dual_mov_b32 v1, 0 :: v_dual_mov_b32 v68, 0
	v_dual_mov_b32 v6, 0 :: v_dual_mov_b32 v81, 0
	s_mov_b32 s5, 0
	s_mov_b32 s8, 0
	s_wait_alu 0xfffe
	s_mov_b32 s6, s5
	scratch_store_b64 off, v[66:67], s33 offset:128
                                        ; implicit-def: $sgpr9
	s_branch .LBB6_194
.LBB6_193:                              ;   in Loop: Header=BB6_194 Depth=1
	s_wait_alu 0xfffe
	s_or_b32 exec_lo, exec_lo, s3
	s_xor_b32 s0, s2, -1
	s_and_b32 s1, exec_lo, s1
	s_wait_alu 0xfffe
	s_or_b32 s8, s1, s8
	s_and_not1_b32 s1, s9, exec_lo
	s_and_b32 s0, s0, exec_lo
	s_wait_alu 0xfffe
	s_or_b32 s9, s1, s0
	s_and_not1_b32 exec_lo, exec_lo, s8
	s_cbranch_execz .LBB6_234
.LBB6_194:                              ; =>This Loop Header: Depth=1
                                        ;     Child Loop BB6_197 Depth 2
                                        ;     Child Loop BB6_202 Depth 2
                                        ;       Child Loop BB6_206 Depth 3
                                        ;     Child Loop BB6_215 Depth 2
                                        ;       Child Loop BB6_219 Depth 3
	s_mov_b32 s7, s5
	s_wait_alu 0xfffe
	s_lshl_b64 s[0:1], s[6:7], 2
	s_mov_b32 s7, exec_lo
	s_wait_loadcnt_dscnt 0x0
	s_wait_alu 0xfffe
	v_add_co_u32 v2, vcc_lo, v64, s0
	s_wait_alu 0xfffd
	v_add_co_ci_u32_e64 v3, null, s1, v65, vcc_lo
	s_mov_b32 s0, -1
	flat_load_b32 v0, v[2:3]
	s_wait_loadcnt_dscnt 0x0
	v_cmpx_lt_i32_e32 -1, v0
	s_cbranch_execz .LBB6_232
; %bb.195:                              ;   in Loop: Header=BB6_194 Depth=1
	v_dual_mov_b32 v4, v70 :: v_dual_mov_b32 v5, v71
	s_mov_b32 s1, 0
	s_mov_b32 s2, 0
                                        ; implicit-def: $sgpr3
	s_branch .LBB6_197
.LBB6_196:                              ;   in Loop: Header=BB6_197 Depth=2
	s_wait_alu 0xfffe
	s_or_b32 exec_lo, exec_lo, s4
	s_delay_alu instid0(SALU_CYCLE_1)
	s_and_b32 s0, exec_lo, s3
	s_wait_alu 0xfffe
	s_or_b32 s1, s0, s1
	s_wait_alu 0xfffe
	s_and_not1_b32 exec_lo, exec_lo, s1
	s_cbranch_execz .LBB6_199
.LBB6_197:                              ;   Parent Loop BB6_194 Depth=1
                                        ; =>  This Inner Loop Header: Depth=2
	flat_load_b32 v8, v[4:5]
	s_or_b32 s3, s3, exec_lo
	s_wait_loadcnt_dscnt 0x0
	v_and_b32_e32 v7, v8, v0
	s_delay_alu instid0(VALU_DEP_1)
	v_cmp_ne_u32_e32 vcc_lo, v7, v8
	s_wait_alu 0xfffe
	v_mov_b32_e32 v7, s2
	s_and_saveexec_b32 s4, vcc_lo
	s_cbranch_execz .LBB6_196
; %bb.198:                              ;   in Loop: Header=BB6_197 Depth=2
	s_add_co_i32 s2, s2, 1
	v_add_co_u32 v4, s0, v4, 4
	s_wait_alu 0xfffe
	v_cmp_eq_u32_e32 vcc_lo, s2, v80
	s_wait_alu 0xf1ff
	v_add_co_ci_u32_e64 v5, null, 0, v5, s0
	v_mov_b32_e32 v7, v80
	s_and_not1_b32 s0, s3, exec_lo
	s_and_b32 s3, vcc_lo, exec_lo
	s_wait_alu 0xfffe
	s_or_b32 s3, s0, s3
	s_branch .LBB6_196
.LBB6_199:                              ;   in Loop: Header=BB6_194 Depth=1
	s_or_b32 exec_lo, exec_lo, s1
	s_mov_b32 s0, -1
	s_mov_b32 s10, exec_lo
	v_cmpx_ne_u32_e64 v7, v80
	s_cbranch_execz .LBB6_231
; %bb.200:                              ;   in Loop: Header=BB6_194 Depth=1
	v_bfi_b32 v8, v8, 0, v0
	s_mov_b32 s3, 0
	v_cmp_lt_i32_e32 vcc_lo, 0, v56
	s_wait_alu 0xfffe
	s_mov_b32 s4, s3
	s_branch .LBB6_202
.LBB6_201:                              ;   in Loop: Header=BB6_202 Depth=2
	s_wait_alu 0xfffe
	s_or_b32 exec_lo, exec_lo, s2
	s_delay_alu instid0(SALU_CYCLE_1)
	s_and_b32 s0, exec_lo, s11
	s_wait_alu 0xfffe
	s_or_b32 s3, s0, s3
	s_wait_alu 0xfffe
	s_and_not1_b32 exec_lo, exec_lo, s3
	s_cbranch_execz .LBB6_212
.LBB6_202:                              ;   Parent Loop BB6_194 Depth=1
                                        ; =>  This Loop Header: Depth=2
                                        ;       Child Loop BB6_206 Depth 3
	s_mov_b32 s11, -1
	s_mov_b32 s1, -1
	s_mov_b32 s12, exec_lo
	s_wait_alu 0xfffe
	v_cmpx_ne_u32_e64 s4, v7
	s_cbranch_execz .LBB6_210
; %bb.203:                              ;   in Loop: Header=BB6_202 Depth=2
	v_mov_b32_e32 v11, 0
	s_and_saveexec_b32 s13, vcc_lo
	s_cbranch_execz .LBB6_209
; %bb.204:                              ;   in Loop: Header=BB6_202 Depth=2
	s_lshl_b64 s[0:1], s[4:5], 2
	s_mov_b32 s14, 0
	s_wait_alu 0xfffe
	v_add_co_u32 v4, s0, v70, s0
	s_wait_alu 0xf1ff
	v_add_co_ci_u32_e64 v5, null, s1, v71, s0
	s_mov_b32 s15, 0
                                        ; implicit-def: $sgpr16
	flat_load_b32 v9, v[4:5]
	v_dual_mov_b32 v4, v64 :: v_dual_mov_b32 v5, v65
	s_wait_loadcnt_dscnt 0x0
	v_not_b32_e32 v10, v9
	s_branch .LBB6_206
.LBB6_205:                              ;   in Loop: Header=BB6_206 Depth=3
	s_wait_alu 0xfffe
	s_or_b32 exec_lo, exec_lo, s2
	s_delay_alu instid0(SALU_CYCLE_1)
	s_and_b32 s0, exec_lo, s16
	s_wait_alu 0xfffe
	s_or_b32 s14, s0, s14
	s_wait_alu 0xfffe
	s_and_not1_b32 exec_lo, exec_lo, s14
	s_cbranch_execz .LBB6_208
.LBB6_206:                              ;   Parent Loop BB6_194 Depth=1
                                        ;     Parent Loop BB6_202 Depth=2
                                        ; =>    This Inner Loop Header: Depth=3
	flat_load_b32 v6, v[4:5]
	s_or_b32 s16, s16, exec_lo
	s_wait_loadcnt_dscnt 0x0
	v_and_b32_e32 v11, v6, v9
	v_and_b32_e32 v12, v6, v10
	v_cmp_gt_i32_e64 s2, 0, v6
	s_delay_alu instid0(VALU_DEP_3)
	v_cmp_ne_u32_e64 s0, v11, v9
	s_wait_alu 0xfffe
	v_mov_b32_e32 v11, s15
	v_cmp_ne_u32_e64 s1, v8, v12
	s_or_b32 s0, s0, s1
	s_wait_alu 0xfffe
	s_or_b32 s0, s0, s2
	s_wait_alu 0xfffe
	s_and_saveexec_b32 s2, s0
	s_cbranch_execz .LBB6_205
; %bb.207:                              ;   in Loop: Header=BB6_206 Depth=3
	s_add_co_i32 s15, s15, 1
	v_add_co_u32 v4, s1, v4, 4
	s_wait_alu 0xfffe
	v_cmp_eq_u32_e64 s0, s15, v56
	s_wait_alu 0xf1ff
	v_add_co_ci_u32_e64 v5, null, 0, v5, s1
	v_mov_b32_e32 v11, v56
	s_and_not1_b32 s1, s16, exec_lo
	s_and_b32 s0, s0, exec_lo
	s_wait_alu 0xfffe
	s_or_b32 s16, s1, s0
	s_branch .LBB6_205
.LBB6_208:                              ;   in Loop: Header=BB6_202 Depth=2
	s_or_b32 exec_lo, exec_lo, s14
.LBB6_209:                              ;   in Loop: Header=BB6_202 Depth=2
	s_wait_alu 0xfffe
	s_or_b32 exec_lo, exec_lo, s13
	v_cmp_ne_u32_e64 s0, v11, v56
	s_or_not1_b32 s1, s0, exec_lo
.LBB6_210:                              ;   in Loop: Header=BB6_202 Depth=2
	s_or_b32 exec_lo, exec_lo, s12
	v_mov_b32_e32 v4, s4
	s_wait_alu 0xfffe
	s_and_saveexec_b32 s2, s1
	s_cbranch_execz .LBB6_201
; %bb.211:                              ;   in Loop: Header=BB6_202 Depth=2
	s_add_co_i32 s4, s4, 1
	v_mov_b32_e32 v4, v80
	s_wait_alu 0xfffe
	v_cmp_eq_u32_e64 s0, s4, v80
	s_or_not1_b32 s11, s0, exec_lo
	s_branch .LBB6_201
.LBB6_212:                              ;   in Loop: Header=BB6_194 Depth=1
	s_or_b32 exec_lo, exec_lo, s3
	s_mov_b32 s0, -1
	s_mov_b32 s11, exec_lo
	v_cmpx_eq_u32_e64 v4, v80
	s_cbranch_execz .LBB6_230
; %bb.213:                              ;   in Loop: Header=BB6_194 Depth=1
	v_ashrrev_i32_e32 v69, 31, v68
	v_add_nc_u32_e32 v81, 1, v68
	v_or_b32_e32 v0, 0x80000000, v0
	s_mov_b32 s12, 0
                                        ; implicit-def: $sgpr13
	s_wait_alu 0xfffe
	s_mov_b32 s4, s12
	v_lshlrev_b64_e32 v[4:5], 2, v[68:69]
	s_delay_alu instid0(VALU_DEP_1) | instskip(SKIP_1) | instid1(VALU_DEP_2)
	v_add_co_u32 v4, vcc_lo, v66, v4
	s_wait_alu 0xfffd
	v_add_co_ci_u32_e64 v5, null, v67, v5, vcc_lo
	flat_store_b32 v[4:5], v8
	flat_store_b32 v[2:3], v0
	s_branch .LBB6_215
.LBB6_214:                              ;   in Loop: Header=BB6_215 Depth=2
	s_wait_alu 0xfffe
	s_or_b32 exec_lo, exec_lo, s2
	s_xor_b32 s0, s1, -1
	s_and_b32 s1, exec_lo, s14
	s_wait_alu 0xfffe
	s_or_b32 s12, s1, s12
	s_and_not1_b32 s1, s13, exec_lo
	s_and_b32 s0, s0, exec_lo
	s_wait_alu 0xfffe
	s_or_b32 s13, s1, s0
	s_and_not1_b32 exec_lo, exec_lo, s12
	s_cbranch_execz .LBB6_227
.LBB6_215:                              ;   Parent Loop BB6_194 Depth=1
                                        ; =>  This Loop Header: Depth=2
                                        ;       Child Loop BB6_219 Depth 3
	s_mov_b32 s14, -1
	s_mov_b32 s0, -1
	s_mov_b32 s15, exec_lo
	s_wait_alu 0xfffe
	v_cmpx_ne_u32_e64 s4, v7
	s_cbranch_execz .LBB6_225
; %bb.216:                              ;   in Loop: Header=BB6_215 Depth=2
	flat_load_b32 v0, v[54:55] offset:4
	v_mov_b32_e32 v4, 0
	v_mov_b32_e32 v5, 0
	s_mov_b32 s0, 0
	s_mov_b32 s16, exec_lo
	s_wait_loadcnt_dscnt 0x0
	v_cmpx_lt_i32_e32 0, v0
	s_cbranch_execz .LBB6_222
; %bb.217:                              ;   in Loop: Header=BB6_215 Depth=2
	s_lshl_b64 s[0:1], s[4:5], 2
	s_mov_b64 s[2:3], 0
	s_wait_alu 0xfffe
	v_add_co_u32 v2, vcc_lo, v70, s0
	s_wait_alu 0xfffd
	v_add_co_ci_u32_e64 v3, null, s1, v71, vcc_lo
	s_mov_b32 s23, 0
                                        ; implicit-def: $sgpr24
                                        ; implicit-def: $sgpr26
                                        ; implicit-def: $sgpr25
	flat_load_b32 v9, v[2:3]
	v_dual_mov_b32 v2, v64 :: v_dual_mov_b32 v3, v65
	s_wait_loadcnt_dscnt 0x0
	v_not_b32_e32 v10, v9
	s_branch .LBB6_219
.LBB6_218:                              ;   in Loop: Header=BB6_219 Depth=3
	s_wait_alu 0xfffe
	s_or_b32 exec_lo, exec_lo, s1
	s_delay_alu instid0(SALU_CYCLE_1)
	s_and_b32 s0, exec_lo, s26
	s_wait_alu 0xfffe
	s_or_b32 s23, s0, s23
	s_and_not1_b32 s0, s24, exec_lo
	s_and_b32 s1, s25, exec_lo
	s_wait_alu 0xfffe
	s_or_b32 s24, s0, s1
	s_and_not1_b32 exec_lo, exec_lo, s23
	s_cbranch_execz .LBB6_221
.LBB6_219:                              ;   Parent Loop BB6_194 Depth=1
                                        ;     Parent Loop BB6_215 Depth=2
                                        ; =>    This Inner Loop Header: Depth=3
	flat_load_b32 v6, v[2:3]
	s_or_b32 s25, s25, exec_lo
	s_or_b32 s26, s26, exec_lo
	s_wait_loadcnt_dscnt 0x0
	v_and_b32_e32 v4, v6, v9
	v_and_b32_e32 v5, v6, v10
	v_cmp_gt_i32_e64 s1, 0, v6
	s_delay_alu instid0(VALU_DEP_3) | instskip(NEXT) | instid1(VALU_DEP_3)
	v_cmp_ne_u32_e32 vcc_lo, v4, v9
	v_cmp_ne_u32_e64 s0, v8, v5
	v_dual_mov_b32 v5, s3 :: v_dual_mov_b32 v4, s2
	s_or_b32 s0, vcc_lo, s0
	s_wait_alu 0xfffe
	s_or_b32 s0, s0, s1
	s_wait_alu 0xfffe
	s_and_saveexec_b32 s1, s0
	s_cbranch_execz .LBB6_218
; %bb.220:                              ;   in Loop: Header=BB6_219 Depth=3
	s_add_nc_u64 s[2:3], s[2:3], 1
	v_add_co_u32 v2, s0, v2, 4
	s_wait_alu 0xfffe
	v_cmp_eq_u32_e32 vcc_lo, s2, v0
	s_wait_alu 0xf1ff
	v_add_co_ci_u32_e64 v3, null, 0, v3, s0
	v_dual_mov_b32 v5, v1 :: v_dual_mov_b32 v4, v0
	s_and_not1_b32 s0, s26, exec_lo
	s_and_b32 s26, vcc_lo, exec_lo
	s_and_not1_b32 s25, s25, exec_lo
	s_wait_alu 0xfffe
	s_or_b32 s26, s0, s26
	s_branch .LBB6_218
.LBB6_221:                              ;   in Loop: Header=BB6_215 Depth=2
	s_or_b32 exec_lo, exec_lo, s23
	s_wait_alu 0xfffe
	s_and_b32 s0, s24, exec_lo
.LBB6_222:                              ;   in Loop: Header=BB6_215 Depth=2
	s_wait_alu 0xfffe
	s_or_b32 exec_lo, exec_lo, s16
	s_mov_b32 s1, 0
	s_and_saveexec_b32 s2, s0
	s_cbranch_execz .LBB6_224
; %bb.223:                              ;   in Loop: Header=BB6_215 Depth=2
	v_lshlrev_b64_e32 v[2:3], 2, v[4:5]
	v_or_b32_e32 v0, 0x80000000, v6
	s_mov_b32 s1, exec_lo
	s_delay_alu instid0(VALU_DEP_2) | instskip(SKIP_1) | instid1(VALU_DEP_3)
	v_add_co_u32 v2, vcc_lo, v64, v2
	s_wait_alu 0xfffd
	v_add_co_ci_u32_e64 v3, null, v65, v3, vcc_lo
	flat_store_b32 v[2:3], v0
.LBB6_224:                              ;   in Loop: Header=BB6_215 Depth=2
	s_wait_alu 0xfffe
	s_or_b32 exec_lo, exec_lo, s2
	s_delay_alu instid0(SALU_CYCLE_1)
	s_or_not1_b32 s0, s1, exec_lo
.LBB6_225:                              ;   in Loop: Header=BB6_215 Depth=2
	s_or_b32 exec_lo, exec_lo, s15
	s_mov_b32 s1, -1
	s_wait_alu 0xfffe
	s_and_saveexec_b32 s2, s0
	s_cbranch_execz .LBB6_214
; %bb.226:                              ;   in Loop: Header=BB6_215 Depth=2
	s_add_co_i32 s4, s4, 1
	s_xor_b32 s1, exec_lo, -1
	s_wait_alu 0xfffe
	v_cmp_eq_u32_e32 vcc_lo, s4, v80
	s_or_not1_b32 s14, vcc_lo, exec_lo
	s_branch .LBB6_214
.LBB6_227:                              ;   in Loop: Header=BB6_194 Depth=1
	s_or_b32 exec_lo, exec_lo, s12
	s_mov_b32 s0, 0
                                        ; implicit-def: $vgpr56
	s_wait_alu 0xfffe
	s_and_saveexec_b32 s1, s13
	s_wait_alu 0xfffe
	s_xor_b32 s1, exec_lo, s1
	s_cbranch_execz .LBB6_229
; %bb.228:                              ;   in Loop: Header=BB6_194 Depth=1
	flat_load_b32 v56, v[54:55] offset:4
	s_mov_b32 s0, exec_lo
.LBB6_229:                              ;   in Loop: Header=BB6_194 Depth=1
	s_wait_alu 0xfffe
	s_or_b32 exec_lo, exec_lo, s1
	v_mov_b32_e32 v68, v81
	s_or_not1_b32 s0, s0, exec_lo
.LBB6_230:                              ;   in Loop: Header=BB6_194 Depth=1
	s_wait_alu 0xfffe
	s_or_b32 exec_lo, exec_lo, s11
	s_delay_alu instid0(SALU_CYCLE_1)
	s_or_not1_b32 s0, s0, exec_lo
.LBB6_231:                              ;   in Loop: Header=BB6_194 Depth=1
	s_wait_alu 0xfffe
	s_or_b32 exec_lo, exec_lo, s10
	s_delay_alu instid0(SALU_CYCLE_1)
	s_or_not1_b32 s0, s0, exec_lo
.LBB6_232:                              ;   in Loop: Header=BB6_194 Depth=1
	s_or_b32 exec_lo, exec_lo, s7
	s_mov_b32 s1, -1
	s_mov_b32 s2, -1
	s_wait_alu 0xfffe
	s_and_saveexec_b32 s3, s0
	s_cbranch_execz .LBB6_193
; %bb.233:                              ;   in Loop: Header=BB6_194 Depth=1
	s_add_co_i32 s6, s6, 1
	s_xor_b32 s2, exec_lo, -1
	s_wait_loadcnt_dscnt 0x0
	s_wait_alu 0xfffe
	v_cmp_ge_i32_e32 vcc_lo, s6, v56
	s_or_not1_b32 s1, vcc_lo, exec_lo
	s_branch .LBB6_193
.LBB6_234:
	s_or_b32 exec_lo, exec_lo, s8
	s_mov_b32 s24, 0
	s_mov_b32 s25, s18
	s_wait_alu 0xfffe
	s_and_saveexec_b32 s0, s9
	s_wait_alu 0xfffe
	s_xor_b32 s23, exec_lo, s0
	s_cbranch_execz .LBB6_395
; %bb.235:
	v_mul_lo_u32 v0, v68, v80
	v_mov_b32_e32 v70, 0
	s_mov_b32 s0, -1
	s_mov_b32 s26, s18
	s_mov_b32 s24, exec_lo
	v_mov_b32_e32 v71, 0
	s_wait_loadcnt_dscnt 0x0
	s_delay_alu instid0(VALU_DEP_3)
	v_sub_nc_u32_e32 v69, v56, v0
	v_mov_b32_e32 v0, 0
	s_clause 0x1
	scratch_store_b32 off, v81, s33 offset:124
	scratch_store_b32 off, v0, s33 offset:140
	v_cmpx_lt_i32_e32 0, v69
	s_cbranch_execz .LBB6_382
; %bb.236:
	flat_load_b32 v0, v[44:45]
	v_mov_b32_e32 v70, 0
	s_mov_b32 s25, 0
	s_mov_b32 s0, exec_lo
	s_wait_loadcnt_dscnt 0x0
	v_dual_mov_b32 v71, 0 :: v_dual_add_nc_u32 v0, v0, v69
	s_delay_alu instid0(VALU_DEP_1)
	v_cmpx_gt_i32_e32 0x2001, v0
	s_wait_alu 0xfffe
	s_xor_b32 s0, exec_lo, s0
	s_cbranch_execz .LBB6_238
; %bb.237:
	v_ashrrev_i32_e32 v1, 31, v0
	v_mov_b32_e32 v70, 0
	s_mov_b32 s25, exec_lo
	flat_store_b32 v[44:45], v0
	v_lshlrev_b64_e32 v[1:2], 2, v[0:1]
	v_lshlrev_b64_e32 v[3:4], 2, v[69:70]
	s_delay_alu instid0(VALU_DEP_2) | instskip(SKIP_1) | instid1(VALU_DEP_3)
	v_add_co_u32 v1, vcc_lo, v44, v1
	s_wait_alu 0xfffd
	v_add_co_ci_u32_e64 v2, null, v45, v2, vcc_lo
	s_delay_alu instid0(VALU_DEP_2) | instskip(SKIP_1) | instid1(VALU_DEP_2)
	v_sub_co_u32 v1, vcc_lo, v1, v3
	s_wait_alu 0xfffd
	v_sub_co_ci_u32_e64 v2, null, v2, v4, vcc_lo
	s_delay_alu instid0(VALU_DEP_2) | instskip(SKIP_1) | instid1(VALU_DEP_2)
	v_add_co_u32 v70, vcc_lo, v1, 4
	s_wait_alu 0xfffd
	v_add_co_ci_u32_e64 v71, null, 0, v2, vcc_lo
.LBB6_238:
	s_wait_alu 0xfffe
	s_or_saveexec_b32 s26, s0
	s_mov_b32 s0, s18
	s_wait_alu 0xfffe
	s_xor_b32 exec_lo, exec_lo, s26
	s_cbranch_execz .LBB6_381
; %bb.239:
	s_load_b64 s[2:3], s[52:53], 0x50
	v_mbcnt_lo_u32_b32 v31, -1, 0
	v_mov_b32_e32 v6, 0
	v_mov_b32_e32 v7, 0
	s_delay_alu instid0(VALU_DEP_3) | instskip(SKIP_1) | instid1(VALU_DEP_1)
	v_readfirstlane_b32 s0, v31
	s_wait_alu 0xf1ff
	v_cmp_eq_u32_e64 s0, s0, v31
	s_and_saveexec_b32 s1, s0
	s_cbranch_execz .LBB6_245
; %bb.240:
	v_mov_b32_e32 v0, 0
	s_mov_b32 s4, exec_lo
	s_wait_kmcnt 0x0
	global_load_b64 v[3:4], v0, s[2:3] offset:24 scope:SCOPE_SYS
	s_wait_loadcnt 0x0
	global_inv scope:SCOPE_SYS
	s_clause 0x1
	global_load_b64 v[1:2], v0, s[2:3] offset:40
	global_load_b64 v[5:6], v0, s[2:3]
	s_wait_loadcnt 0x1
	v_and_b32_e32 v2, v2, v4
	v_and_b32_e32 v1, v1, v3
	s_delay_alu instid0(VALU_DEP_2) | instskip(NEXT) | instid1(VALU_DEP_2)
	v_mul_lo_u32 v2, 24, v2
	v_mul_lo_u32 v7, 0, v1
	v_mul_hi_u32 v8, 24, v1
	v_mul_lo_u32 v1, 24, v1
	s_delay_alu instid0(VALU_DEP_3) | instskip(SKIP_1) | instid1(VALU_DEP_2)
	v_add_nc_u32_e32 v2, v2, v7
	s_wait_loadcnt 0x0
	v_add_co_u32 v1, vcc_lo, v5, v1
	s_delay_alu instid0(VALU_DEP_2) | instskip(SKIP_1) | instid1(VALU_DEP_1)
	v_add_nc_u32_e32 v2, v2, v8
	s_wait_alu 0xfffd
	v_add_co_ci_u32_e64 v2, null, v6, v2, vcc_lo
	global_load_b64 v[1:2], v[1:2], off scope:SCOPE_SYS
	s_wait_loadcnt 0x0
	global_atomic_cmpswap_b64 v[6:7], v0, v[1:4], s[2:3] offset:24 th:TH_ATOMIC_RETURN scope:SCOPE_SYS
	s_wait_loadcnt 0x0
	global_inv scope:SCOPE_SYS
	v_cmpx_ne_u64_e64 v[6:7], v[3:4]
	s_cbranch_execz .LBB6_244
; %bb.241:
	s_mov_b32 s5, 0
.LBB6_242:                              ; =>This Inner Loop Header: Depth=1
	s_sleep 1
	s_clause 0x1
	global_load_b64 v[1:2], v0, s[2:3] offset:40
	global_load_b64 v[8:9], v0, s[2:3]
	v_dual_mov_b32 v3, v6 :: v_dual_mov_b32 v4, v7
	s_wait_loadcnt 0x1
	s_delay_alu instid0(VALU_DEP_1) | instskip(NEXT) | instid1(VALU_DEP_2)
	v_and_b32_e32 v1, v1, v3
	v_and_b32_e32 v2, v2, v4
	s_wait_loadcnt 0x0
	s_delay_alu instid0(VALU_DEP_2) | instskip(NEXT) | instid1(VALU_DEP_1)
	v_mad_co_u64_u32 v[5:6], null, v1, 24, v[8:9]
	v_mov_b32_e32 v1, v6
	s_delay_alu instid0(VALU_DEP_1) | instskip(NEXT) | instid1(VALU_DEP_1)
	v_mad_co_u64_u32 v[1:2], null, v2, 24, v[1:2]
	v_mov_b32_e32 v6, v1
	global_load_b64 v[1:2], v[5:6], off scope:SCOPE_SYS
	s_wait_loadcnt 0x0
	global_atomic_cmpswap_b64 v[6:7], v0, v[1:4], s[2:3] offset:24 th:TH_ATOMIC_RETURN scope:SCOPE_SYS
	s_wait_loadcnt 0x0
	global_inv scope:SCOPE_SYS
	v_cmp_eq_u64_e32 vcc_lo, v[6:7], v[3:4]
	s_wait_alu 0xfffe
	s_or_b32 s5, vcc_lo, s5
	s_wait_alu 0xfffe
	s_and_not1_b32 exec_lo, exec_lo, s5
	s_cbranch_execnz .LBB6_242
; %bb.243:
	s_or_b32 exec_lo, exec_lo, s5
.LBB6_244:
	s_wait_alu 0xfffe
	s_or_b32 exec_lo, exec_lo, s4
.LBB6_245:
	s_wait_alu 0xfffe
	s_or_b32 exec_lo, exec_lo, s1
	v_readfirstlane_b32 s4, v6
	v_mov_b32_e32 v5, 0
	v_readfirstlane_b32 s5, v7
	s_mov_b32 s1, exec_lo
	s_wait_kmcnt 0x0
	s_clause 0x1
	global_load_b64 v[8:9], v5, s[2:3] offset:40
	global_load_b128 v[0:3], v5, s[2:3]
	s_wait_loadcnt 0x1
	s_wait_alu 0xf1ff
	v_and_b32_e32 v11, s5, v9
	v_and_b32_e32 v10, s4, v8
	s_delay_alu instid0(VALU_DEP_2) | instskip(NEXT) | instid1(VALU_DEP_2)
	v_mul_lo_u32 v4, 24, v11
	v_mul_lo_u32 v6, 0, v10
	v_mul_hi_u32 v7, 24, v10
	v_mul_lo_u32 v8, 24, v10
	s_delay_alu instid0(VALU_DEP_3) | instskip(SKIP_1) | instid1(VALU_DEP_2)
	v_add_nc_u32_e32 v4, v4, v6
	s_wait_loadcnt 0x0
	v_add_co_u32 v8, vcc_lo, v0, v8
	s_delay_alu instid0(VALU_DEP_2) | instskip(SKIP_1) | instid1(VALU_DEP_1)
	v_add_nc_u32_e32 v4, v4, v7
	s_wait_alu 0xfffd
	v_add_co_ci_u32_e64 v9, null, v1, v4, vcc_lo
	s_and_saveexec_b32 s6, s0
	s_cbranch_execz .LBB6_247
; %bb.246:
	s_wait_alu 0xfffe
	v_dual_mov_b32 v4, s1 :: v_dual_mov_b32 v7, 1
	v_mov_b32_e32 v6, 2
	global_store_b128 v[8:9], v[4:7], off offset:8
.LBB6_247:
	s_wait_alu 0xfffe
	s_or_b32 exec_lo, exec_lo, s6
	v_lshlrev_b64_e32 v[10:11], 12, v[10:11]
	v_dual_mov_b32 v7, v5 :: v_dual_lshlrev_b32 v30, 6, v31
	s_mov_b32 s8, 0
	s_wait_alu 0xfffe
	s_mov_b32 s11, s8
	s_delay_alu instid0(VALU_DEP_2)
	v_add_co_u32 v2, vcc_lo, v2, v10
	s_wait_alu 0xfffd
	v_add_co_ci_u32_e64 v3, null, v3, v11, vcc_lo
	s_mov_b32 s9, s8
	v_add_co_u32 v10, vcc_lo, v2, v30
	s_mov_b32 s10, s8
	s_wait_alu 0xfffe
	v_dual_mov_b32 v4, 33 :: v_dual_mov_b32 v15, s11
	v_dual_mov_b32 v6, v5 :: v_dual_mov_b32 v13, s9
	v_readfirstlane_b32 s6, v2
	v_readfirstlane_b32 s7, v3
	s_wait_alu 0xfffd
	v_add_co_ci_u32_e64 v11, null, 0, v3, vcc_lo
	v_mov_b32_e32 v14, s10
	v_mov_b32_e32 v12, s8
	s_clause 0x3
	global_store_b128 v30, v[4:7], s[6:7]
	global_store_b128 v30, v[12:15], s[6:7] offset:16
	global_store_b128 v30, v[12:15], s[6:7] offset:32
	;; [unrolled: 1-line block ×3, first 2 shown]
	s_and_saveexec_b32 s1, s0
	s_cbranch_execz .LBB6_255
; %bb.248:
	v_mov_b32_e32 v6, 0
	s_mov_b32 s6, exec_lo
	s_clause 0x1
	global_load_b64 v[14:15], v6, s[2:3] offset:32 scope:SCOPE_SYS
	global_load_b64 v[2:3], v6, s[2:3] offset:40
	v_dual_mov_b32 v13, s5 :: v_dual_mov_b32 v12, s4
	s_wait_loadcnt 0x0
	v_and_b32_e32 v3, s5, v3
	v_and_b32_e32 v2, s4, v2
	s_delay_alu instid0(VALU_DEP_2) | instskip(NEXT) | instid1(VALU_DEP_2)
	v_mul_lo_u32 v3, 24, v3
	v_mul_lo_u32 v4, 0, v2
	v_mul_hi_u32 v5, 24, v2
	v_mul_lo_u32 v2, 24, v2
	s_delay_alu instid0(VALU_DEP_3) | instskip(NEXT) | instid1(VALU_DEP_2)
	v_add_nc_u32_e32 v3, v3, v4
	v_add_co_u32 v4, vcc_lo, v0, v2
	s_delay_alu instid0(VALU_DEP_2) | instskip(SKIP_1) | instid1(VALU_DEP_1)
	v_add_nc_u32_e32 v3, v3, v5
	s_wait_alu 0xfffd
	v_add_co_ci_u32_e64 v5, null, v1, v3, vcc_lo
	global_store_b64 v[4:5], v[14:15], off
	global_wb scope:SCOPE_SYS
	s_wait_storecnt 0x0
	global_atomic_cmpswap_b64 v[2:3], v6, v[12:15], s[2:3] offset:32 th:TH_ATOMIC_RETURN scope:SCOPE_SYS
	s_wait_loadcnt 0x0
	v_cmpx_ne_u64_e64 v[2:3], v[14:15]
	s_cbranch_execz .LBB6_251
; %bb.249:
	s_mov_b32 s7, 0
.LBB6_250:                              ; =>This Inner Loop Header: Depth=1
	v_dual_mov_b32 v0, s4 :: v_dual_mov_b32 v1, s5
	s_sleep 1
	global_store_b64 v[4:5], v[2:3], off
	global_wb scope:SCOPE_SYS
	s_wait_storecnt 0x0
	global_atomic_cmpswap_b64 v[0:1], v6, v[0:3], s[2:3] offset:32 th:TH_ATOMIC_RETURN scope:SCOPE_SYS
	s_wait_loadcnt 0x0
	v_cmp_eq_u64_e32 vcc_lo, v[0:1], v[2:3]
	v_dual_mov_b32 v3, v1 :: v_dual_mov_b32 v2, v0
	s_wait_alu 0xfffe
	s_or_b32 s7, vcc_lo, s7
	s_wait_alu 0xfffe
	s_and_not1_b32 exec_lo, exec_lo, s7
	s_cbranch_execnz .LBB6_250
.LBB6_251:
	s_wait_alu 0xfffe
	s_or_b32 exec_lo, exec_lo, s6
	v_mov_b32_e32 v3, 0
	s_mov_b32 s7, exec_lo
	s_mov_b32 s6, exec_lo
	s_wait_alu 0xfffe
	v_mbcnt_lo_u32_b32 v2, s7, 0
	global_load_b64 v[0:1], v3, s[2:3] offset:16
	v_cmpx_eq_u32_e32 0, v2
	s_cbranch_execz .LBB6_253
; %bb.252:
	s_bcnt1_i32_b32 s7, s7
	s_wait_alu 0xfffe
	v_mov_b32_e32 v2, s7
	global_wb scope:SCOPE_SYS
	s_wait_loadcnt 0x0
	s_wait_storecnt 0x0
	global_atomic_add_u64 v[0:1], v[2:3], off offset:8 scope:SCOPE_SYS
.LBB6_253:
	s_or_b32 exec_lo, exec_lo, s6
	s_wait_loadcnt 0x0
	global_load_b64 v[2:3], v[0:1], off offset:16
	s_wait_loadcnt 0x0
	v_cmp_eq_u64_e32 vcc_lo, 0, v[2:3]
	s_cbranch_vccnz .LBB6_255
; %bb.254:
	global_load_b32 v0, v[0:1], off offset:24
	v_mov_b32_e32 v1, 0
	s_wait_loadcnt 0x0
	v_readfirstlane_b32 s6, v0
	global_wb scope:SCOPE_SYS
	s_wait_storecnt 0x0
	global_store_b64 v[2:3], v[0:1], off scope:SCOPE_SYS
	s_and_b32 m0, s6, 0xffffff
	s_sendmsg sendmsg(MSG_INTERRUPT)
.LBB6_255:
	s_wait_alu 0xfffe
	s_or_b32 exec_lo, exec_lo, s1
	s_branch .LBB6_259
.LBB6_256:                              ;   in Loop: Header=BB6_259 Depth=1
	s_wait_alu 0xfffe
	s_or_b32 exec_lo, exec_lo, s1
	s_delay_alu instid0(VALU_DEP_1)
	v_readfirstlane_b32 s1, v0
	s_cmp_eq_u32 s1, 0
	s_cbranch_scc1 .LBB6_258
; %bb.257:                              ;   in Loop: Header=BB6_259 Depth=1
	s_sleep 1
	s_cbranch_execnz .LBB6_259
	s_branch .LBB6_261
.LBB6_258:
	s_branch .LBB6_261
.LBB6_259:                              ; =>This Inner Loop Header: Depth=1
	v_mov_b32_e32 v0, 1
	s_and_saveexec_b32 s1, s0
	s_cbranch_execz .LBB6_256
; %bb.260:                              ;   in Loop: Header=BB6_259 Depth=1
	global_load_b32 v0, v[8:9], off offset:20 scope:SCOPE_SYS
	s_wait_loadcnt 0x0
	global_inv scope:SCOPE_SYS
	v_and_b32_e32 v0, 1, v0
	s_branch .LBB6_256
.LBB6_261:
	global_load_b64 v[0:1], v[10:11], off
	s_and_saveexec_b32 s6, s0
	s_cbranch_execz .LBB6_265
; %bb.262:
	v_mov_b32_e32 v8, 0
	s_clause 0x2
	global_load_b64 v[2:3], v8, s[2:3] offset:40
	global_load_b64 v[11:12], v8, s[2:3] offset:24 scope:SCOPE_SYS
	global_load_b64 v[4:5], v8, s[2:3]
	s_wait_loadcnt 0x2
	v_readfirstlane_b32 s8, v2
	v_readfirstlane_b32 s9, v3
	s_add_nc_u64 s[0:1], s[8:9], 1
	s_wait_alu 0xfffe
	s_add_nc_u64 s[4:5], s[0:1], s[4:5]
	s_wait_alu 0xfffe
	s_cmp_eq_u64 s[4:5], 0
	s_cselect_b32 s1, s1, s5
	s_cselect_b32 s0, s0, s4
	s_wait_alu 0xfffe
	v_mov_b32_e32 v10, s1
	s_and_b64 s[4:5], s[0:1], s[8:9]
	v_mov_b32_e32 v9, s0
	s_wait_alu 0xfffe
	s_mul_u64 s[4:5], s[4:5], 24
	s_wait_loadcnt 0x0
	s_wait_alu 0xfffe
	v_add_co_u32 v6, vcc_lo, v4, s4
	s_wait_alu 0xfffd
	v_add_co_ci_u32_e64 v7, null, s5, v5, vcc_lo
	global_store_b64 v[6:7], v[11:12], off
	global_wb scope:SCOPE_SYS
	s_wait_storecnt 0x0
	global_atomic_cmpswap_b64 v[4:5], v8, v[9:12], s[2:3] offset:24 th:TH_ATOMIC_RETURN scope:SCOPE_SYS
	s_wait_loadcnt 0x0
	v_cmp_ne_u64_e32 vcc_lo, v[4:5], v[11:12]
	s_and_b32 exec_lo, exec_lo, vcc_lo
	s_cbranch_execz .LBB6_265
; %bb.263:
	s_mov_b32 s4, 0
.LBB6_264:                              ; =>This Inner Loop Header: Depth=1
	v_dual_mov_b32 v2, s0 :: v_dual_mov_b32 v3, s1
	s_sleep 1
	global_store_b64 v[6:7], v[4:5], off
	global_wb scope:SCOPE_SYS
	s_wait_storecnt 0x0
	global_atomic_cmpswap_b64 v[2:3], v8, v[2:5], s[2:3] offset:24 th:TH_ATOMIC_RETURN scope:SCOPE_SYS
	s_wait_loadcnt 0x0
	v_cmp_eq_u64_e32 vcc_lo, v[2:3], v[4:5]
	v_dual_mov_b32 v5, v3 :: v_dual_mov_b32 v4, v2
	s_wait_alu 0xfffe
	s_or_b32 s4, vcc_lo, s4
	s_wait_alu 0xfffe
	s_and_not1_b32 exec_lo, exec_lo, s4
	s_cbranch_execnz .LBB6_264
.LBB6_265:
	s_wait_alu 0xfffe
	s_or_b32 exec_lo, exec_lo, s6
	s_getpc_b64 s[4:5]
	s_wait_alu 0xfffe
	s_sext_i32_i16 s5, s5
	s_add_co_u32 s4, s4, .str.28@rel32@lo+12
	s_wait_alu 0xfffe
	s_add_co_ci_u32 s5, s5, .str.28@rel32@hi+24
	s_wait_alu 0xfffe
	s_cmp_lg_u64 s[4:5], 0
	s_cbranch_scc0 .LBB6_351
; %bb.266:
	s_wait_loadcnt 0x0
	v_dual_mov_b32 v7, v1 :: v_dual_and_b32 v6, -3, v0
	v_dual_mov_b32 v3, 0 :: v_dual_mov_b32 v4, 2
	v_mov_b32_e32 v5, 1
	s_mov_b64 s[6:7], 35
	s_branch .LBB6_268
.LBB6_267:                              ;   in Loop: Header=BB6_268 Depth=1
	s_wait_alu 0xfffe
	s_or_b32 exec_lo, exec_lo, s12
	s_sub_nc_u64 s[6:7], s[6:7], s[8:9]
	s_add_nc_u64 s[4:5], s[4:5], s[8:9]
	s_wait_alu 0xfffe
	s_cmp_lg_u64 s[6:7], 0
	s_cbranch_scc0 .LBB6_350
.LBB6_268:                              ; =>This Loop Header: Depth=1
                                        ;     Child Loop BB6_271 Depth 2
                                        ;     Child Loop BB6_279 Depth 2
	;; [unrolled: 1-line block ×11, first 2 shown]
	s_wait_alu 0xfffe
	v_cmp_lt_u64_e64 s0, s[6:7], 56
	v_cmp_gt_u64_e64 s1, s[6:7], 7
	s_and_b32 s0, s0, exec_lo
	s_cselect_b32 s9, s7, 0
	s_cselect_b32 s8, s6, 56
	s_and_b32 vcc_lo, exec_lo, s1
	s_wait_alu 0xfffe
	s_cbranch_vccnz .LBB6_273
; %bb.269:                              ;   in Loop: Header=BB6_268 Depth=1
	s_wait_loadcnt 0x0
	v_mov_b32_e32 v8, 0
	v_mov_b32_e32 v9, 0
	s_cmp_eq_u64 s[6:7], 0
	s_cbranch_scc1 .LBB6_272
; %bb.270:                              ;   in Loop: Header=BB6_268 Depth=1
	s_mov_b64 s[0:1], 0
	s_mov_b64 s[10:11], 0
.LBB6_271:                              ;   Parent Loop BB6_268 Depth=1
                                        ; =>  This Inner Loop Header: Depth=2
	s_wait_alu 0xfffe
	s_add_nc_u64 s[12:13], s[4:5], s[10:11]
	s_add_nc_u64 s[10:11], s[10:11], 1
	global_load_u8 v2, v3, s[12:13]
	s_wait_alu 0xfffe
	s_cmp_lg_u32 s8, s10
	s_wait_loadcnt 0x0
	v_and_b32_e32 v2, 0xffff, v2
	s_delay_alu instid0(VALU_DEP_1) | instskip(SKIP_1) | instid1(VALU_DEP_1)
	v_lshlrev_b64_e32 v[10:11], s0, v[2:3]
	s_add_nc_u64 s[0:1], s[0:1], 8
	v_or_b32_e32 v8, v10, v8
	s_delay_alu instid0(VALU_DEP_2)
	v_or_b32_e32 v9, v11, v9
	s_cbranch_scc1 .LBB6_271
.LBB6_272:                              ;   in Loop: Header=BB6_268 Depth=1
	s_mov_b32 s0, 0
	s_mov_b64 s[10:11], s[4:5]
	s_branch .LBB6_274
.LBB6_273:                              ;   in Loop: Header=BB6_268 Depth=1
	s_add_nc_u64 s[10:11], s[4:5], 8
	s_mov_b32 s0, -1
.LBB6_274:                              ;   in Loop: Header=BB6_268 Depth=1
	s_wait_alu 0xfffe
	s_and_not1_b32 vcc_lo, exec_lo, s0
	s_mov_b32 s14, 0
	s_wait_alu 0xfffe
	s_cbranch_vccnz .LBB6_276
; %bb.275:                              ;   in Loop: Header=BB6_268 Depth=1
	s_wait_loadcnt 0x0
	global_load_b64 v[8:9], v3, s[4:5]
	s_add_co_i32 s14, s8, -8
.LBB6_276:                              ;   in Loop: Header=BB6_268 Depth=1
	s_wait_alu 0xfffe
	s_cmp_gt_u32 s14, 7
	s_cbranch_scc1 .LBB6_281
; %bb.277:                              ;   in Loop: Header=BB6_268 Depth=1
	v_mov_b32_e32 v10, 0
	v_mov_b32_e32 v11, 0
	s_cmp_eq_u32 s14, 0
	s_cbranch_scc1 .LBB6_280
; %bb.278:                              ;   in Loop: Header=BB6_268 Depth=1
	s_mov_b64 s[0:1], 0
	s_mov_b64 s[12:13], 0
.LBB6_279:                              ;   Parent Loop BB6_268 Depth=1
                                        ; =>  This Inner Loop Header: Depth=2
	s_wait_alu 0xfffe
	s_add_nc_u64 s[40:41], s[10:11], s[12:13]
	s_add_nc_u64 s[12:13], s[12:13], 1
	global_load_u8 v2, v3, s[40:41]
	s_wait_alu 0xfffe
	s_cmp_lg_u32 s14, s12
	s_wait_loadcnt 0x0
	v_and_b32_e32 v2, 0xffff, v2
	s_delay_alu instid0(VALU_DEP_1) | instskip(SKIP_1) | instid1(VALU_DEP_1)
	v_lshlrev_b64_e32 v[12:13], s0, v[2:3]
	s_add_nc_u64 s[0:1], s[0:1], 8
	v_or_b32_e32 v10, v12, v10
	s_delay_alu instid0(VALU_DEP_2)
	v_or_b32_e32 v11, v13, v11
	s_cbranch_scc1 .LBB6_279
.LBB6_280:                              ;   in Loop: Header=BB6_268 Depth=1
	s_mov_b32 s12, 0
	s_mov_b64 s[0:1], s[10:11]
	s_branch .LBB6_282
.LBB6_281:                              ;   in Loop: Header=BB6_268 Depth=1
	s_add_nc_u64 s[0:1], s[10:11], 8
	s_mov_b32 s12, -1
                                        ; implicit-def: $vgpr10_vgpr11
.LBB6_282:                              ;   in Loop: Header=BB6_268 Depth=1
	s_wait_alu 0xfffe
	s_and_not1_b32 vcc_lo, exec_lo, s12
	s_mov_b32 s15, 0
	s_wait_alu 0xfffe
	s_cbranch_vccnz .LBB6_284
; %bb.283:                              ;   in Loop: Header=BB6_268 Depth=1
	global_load_b64 v[10:11], v3, s[10:11]
	s_add_co_i32 s15, s14, -8
.LBB6_284:                              ;   in Loop: Header=BB6_268 Depth=1
	s_wait_alu 0xfffe
	s_cmp_gt_u32 s15, 7
	s_cbranch_scc1 .LBB6_289
; %bb.285:                              ;   in Loop: Header=BB6_268 Depth=1
	v_mov_b32_e32 v12, 0
	v_mov_b32_e32 v13, 0
	s_cmp_eq_u32 s15, 0
	s_cbranch_scc1 .LBB6_288
; %bb.286:                              ;   in Loop: Header=BB6_268 Depth=1
	s_mov_b64 s[10:11], 0
	s_mov_b64 s[12:13], 0
.LBB6_287:                              ;   Parent Loop BB6_268 Depth=1
                                        ; =>  This Inner Loop Header: Depth=2
	s_wait_alu 0xfffe
	s_add_nc_u64 s[40:41], s[0:1], s[12:13]
	s_add_nc_u64 s[12:13], s[12:13], 1
	global_load_u8 v2, v3, s[40:41]
	s_wait_alu 0xfffe
	s_cmp_lg_u32 s15, s12
	s_wait_loadcnt 0x0
	v_and_b32_e32 v2, 0xffff, v2
	s_delay_alu instid0(VALU_DEP_1) | instskip(SKIP_1) | instid1(VALU_DEP_1)
	v_lshlrev_b64_e32 v[14:15], s10, v[2:3]
	s_add_nc_u64 s[10:11], s[10:11], 8
	v_or_b32_e32 v12, v14, v12
	s_delay_alu instid0(VALU_DEP_2)
	v_or_b32_e32 v13, v15, v13
	s_cbranch_scc1 .LBB6_287
.LBB6_288:                              ;   in Loop: Header=BB6_268 Depth=1
	s_mov_b32 s12, 0
	s_mov_b64 s[10:11], s[0:1]
	s_branch .LBB6_290
.LBB6_289:                              ;   in Loop: Header=BB6_268 Depth=1
	s_add_nc_u64 s[10:11], s[0:1], 8
	s_mov_b32 s12, -1
.LBB6_290:                              ;   in Loop: Header=BB6_268 Depth=1
	s_wait_alu 0xfffe
	s_and_not1_b32 vcc_lo, exec_lo, s12
	s_mov_b32 s14, 0
	s_wait_alu 0xfffe
	s_cbranch_vccnz .LBB6_292
; %bb.291:                              ;   in Loop: Header=BB6_268 Depth=1
	global_load_b64 v[12:13], v3, s[0:1]
	s_add_co_i32 s14, s15, -8
.LBB6_292:                              ;   in Loop: Header=BB6_268 Depth=1
	s_wait_alu 0xfffe
	s_cmp_gt_u32 s14, 7
	s_cbranch_scc1 .LBB6_297
; %bb.293:                              ;   in Loop: Header=BB6_268 Depth=1
	v_mov_b32_e32 v14, 0
	v_mov_b32_e32 v15, 0
	s_cmp_eq_u32 s14, 0
	s_cbranch_scc1 .LBB6_296
; %bb.294:                              ;   in Loop: Header=BB6_268 Depth=1
	s_mov_b64 s[0:1], 0
	s_mov_b64 s[12:13], 0
.LBB6_295:                              ;   Parent Loop BB6_268 Depth=1
                                        ; =>  This Inner Loop Header: Depth=2
	s_wait_alu 0xfffe
	s_add_nc_u64 s[40:41], s[10:11], s[12:13]
	s_add_nc_u64 s[12:13], s[12:13], 1
	global_load_u8 v2, v3, s[40:41]
	s_wait_alu 0xfffe
	s_cmp_lg_u32 s14, s12
	s_wait_loadcnt 0x0
	v_and_b32_e32 v2, 0xffff, v2
	s_delay_alu instid0(VALU_DEP_1) | instskip(SKIP_1) | instid1(VALU_DEP_1)
	v_lshlrev_b64_e32 v[16:17], s0, v[2:3]
	s_add_nc_u64 s[0:1], s[0:1], 8
	v_or_b32_e32 v14, v16, v14
	s_delay_alu instid0(VALU_DEP_2)
	v_or_b32_e32 v15, v17, v15
	s_cbranch_scc1 .LBB6_295
.LBB6_296:                              ;   in Loop: Header=BB6_268 Depth=1
	s_mov_b32 s12, 0
	s_mov_b64 s[0:1], s[10:11]
	s_branch .LBB6_298
.LBB6_297:                              ;   in Loop: Header=BB6_268 Depth=1
	s_add_nc_u64 s[0:1], s[10:11], 8
	s_mov_b32 s12, -1
                                        ; implicit-def: $vgpr14_vgpr15
.LBB6_298:                              ;   in Loop: Header=BB6_268 Depth=1
	s_wait_alu 0xfffe
	s_and_not1_b32 vcc_lo, exec_lo, s12
	s_mov_b32 s15, 0
	s_wait_alu 0xfffe
	s_cbranch_vccnz .LBB6_300
; %bb.299:                              ;   in Loop: Header=BB6_268 Depth=1
	global_load_b64 v[14:15], v3, s[10:11]
	s_add_co_i32 s15, s14, -8
.LBB6_300:                              ;   in Loop: Header=BB6_268 Depth=1
	s_wait_alu 0xfffe
	s_cmp_gt_u32 s15, 7
	s_cbranch_scc1 .LBB6_305
; %bb.301:                              ;   in Loop: Header=BB6_268 Depth=1
	v_mov_b32_e32 v16, 0
	v_mov_b32_e32 v17, 0
	s_cmp_eq_u32 s15, 0
	s_cbranch_scc1 .LBB6_304
; %bb.302:                              ;   in Loop: Header=BB6_268 Depth=1
	s_mov_b64 s[10:11], 0
	s_mov_b64 s[12:13], 0
.LBB6_303:                              ;   Parent Loop BB6_268 Depth=1
                                        ; =>  This Inner Loop Header: Depth=2
	s_wait_alu 0xfffe
	s_add_nc_u64 s[40:41], s[0:1], s[12:13]
	s_add_nc_u64 s[12:13], s[12:13], 1
	global_load_u8 v2, v3, s[40:41]
	s_wait_alu 0xfffe
	s_cmp_lg_u32 s15, s12
	s_wait_loadcnt 0x0
	v_and_b32_e32 v2, 0xffff, v2
	s_delay_alu instid0(VALU_DEP_1) | instskip(SKIP_1) | instid1(VALU_DEP_1)
	v_lshlrev_b64_e32 v[18:19], s10, v[2:3]
	s_add_nc_u64 s[10:11], s[10:11], 8
	v_or_b32_e32 v16, v18, v16
	s_delay_alu instid0(VALU_DEP_2)
	v_or_b32_e32 v17, v19, v17
	s_cbranch_scc1 .LBB6_303
.LBB6_304:                              ;   in Loop: Header=BB6_268 Depth=1
	s_mov_b32 s12, 0
	s_mov_b64 s[10:11], s[0:1]
	s_branch .LBB6_306
.LBB6_305:                              ;   in Loop: Header=BB6_268 Depth=1
	s_add_nc_u64 s[10:11], s[0:1], 8
	s_mov_b32 s12, -1
.LBB6_306:                              ;   in Loop: Header=BB6_268 Depth=1
	s_wait_alu 0xfffe
	s_and_not1_b32 vcc_lo, exec_lo, s12
	s_mov_b32 s14, 0
	s_wait_alu 0xfffe
	s_cbranch_vccnz .LBB6_308
; %bb.307:                              ;   in Loop: Header=BB6_268 Depth=1
	global_load_b64 v[16:17], v3, s[0:1]
	s_add_co_i32 s14, s15, -8
.LBB6_308:                              ;   in Loop: Header=BB6_268 Depth=1
	s_wait_alu 0xfffe
	s_cmp_gt_u32 s14, 7
	s_cbranch_scc1 .LBB6_313
; %bb.309:                              ;   in Loop: Header=BB6_268 Depth=1
	v_mov_b32_e32 v18, 0
	v_mov_b32_e32 v19, 0
	s_cmp_eq_u32 s14, 0
	s_cbranch_scc1 .LBB6_312
; %bb.310:                              ;   in Loop: Header=BB6_268 Depth=1
	s_mov_b64 s[0:1], 0
	s_mov_b64 s[12:13], 0
.LBB6_311:                              ;   Parent Loop BB6_268 Depth=1
                                        ; =>  This Inner Loop Header: Depth=2
	s_wait_alu 0xfffe
	s_add_nc_u64 s[40:41], s[10:11], s[12:13]
	s_add_nc_u64 s[12:13], s[12:13], 1
	global_load_u8 v2, v3, s[40:41]
	s_wait_alu 0xfffe
	s_cmp_lg_u32 s14, s12
	s_wait_loadcnt 0x0
	v_and_b32_e32 v2, 0xffff, v2
	s_delay_alu instid0(VALU_DEP_1) | instskip(SKIP_1) | instid1(VALU_DEP_1)
	v_lshlrev_b64_e32 v[20:21], s0, v[2:3]
	s_add_nc_u64 s[0:1], s[0:1], 8
	v_or_b32_e32 v18, v20, v18
	s_delay_alu instid0(VALU_DEP_2)
	v_or_b32_e32 v19, v21, v19
	s_cbranch_scc1 .LBB6_311
.LBB6_312:                              ;   in Loop: Header=BB6_268 Depth=1
	s_mov_b32 s12, 0
	s_mov_b64 s[0:1], s[10:11]
	s_branch .LBB6_314
.LBB6_313:                              ;   in Loop: Header=BB6_268 Depth=1
	s_add_nc_u64 s[0:1], s[10:11], 8
	s_mov_b32 s12, -1
                                        ; implicit-def: $vgpr18_vgpr19
.LBB6_314:                              ;   in Loop: Header=BB6_268 Depth=1
	s_wait_alu 0xfffe
	s_and_not1_b32 vcc_lo, exec_lo, s12
	s_mov_b32 s15, 0
	s_wait_alu 0xfffe
	s_cbranch_vccnz .LBB6_316
; %bb.315:                              ;   in Loop: Header=BB6_268 Depth=1
	global_load_b64 v[18:19], v3, s[10:11]
	s_add_co_i32 s15, s14, -8
.LBB6_316:                              ;   in Loop: Header=BB6_268 Depth=1
	s_wait_alu 0xfffe
	s_cmp_gt_u32 s15, 7
	s_cbranch_scc1 .LBB6_321
; %bb.317:                              ;   in Loop: Header=BB6_268 Depth=1
	v_mov_b32_e32 v20, 0
	v_mov_b32_e32 v21, 0
	s_cmp_eq_u32 s15, 0
	s_cbranch_scc1 .LBB6_320
; %bb.318:                              ;   in Loop: Header=BB6_268 Depth=1
	s_mov_b64 s[10:11], 0
	s_mov_b64 s[12:13], s[0:1]
.LBB6_319:                              ;   Parent Loop BB6_268 Depth=1
                                        ; =>  This Inner Loop Header: Depth=2
	global_load_u8 v2, v3, s[12:13]
	s_add_co_i32 s15, s15, -1
	s_wait_alu 0xfffe
	s_add_nc_u64 s[12:13], s[12:13], 1
	s_cmp_lg_u32 s15, 0
	s_wait_loadcnt 0x0
	v_and_b32_e32 v2, 0xffff, v2
	s_delay_alu instid0(VALU_DEP_1) | instskip(SKIP_1) | instid1(VALU_DEP_1)
	v_lshlrev_b64_e32 v[22:23], s10, v[2:3]
	s_add_nc_u64 s[10:11], s[10:11], 8
	v_or_b32_e32 v20, v22, v20
	s_delay_alu instid0(VALU_DEP_2)
	v_or_b32_e32 v21, v23, v21
	s_cbranch_scc1 .LBB6_319
.LBB6_320:                              ;   in Loop: Header=BB6_268 Depth=1
	s_mov_b32 s10, 0
	s_branch .LBB6_322
.LBB6_321:                              ;   in Loop: Header=BB6_268 Depth=1
	s_mov_b32 s10, -1
.LBB6_322:                              ;   in Loop: Header=BB6_268 Depth=1
	s_wait_alu 0xfffe
	s_and_not1_b32 vcc_lo, exec_lo, s10
	s_wait_alu 0xfffe
	s_cbranch_vccnz .LBB6_324
; %bb.323:                              ;   in Loop: Header=BB6_268 Depth=1
	global_load_b64 v[20:21], v3, s[0:1]
.LBB6_324:                              ;   in Loop: Header=BB6_268 Depth=1
	v_readfirstlane_b32 s0, v31
	v_mov_b32_e32 v26, 0
	v_mov_b32_e32 v27, 0
	s_wait_alu 0xf1ff
	s_delay_alu instid0(VALU_DEP_3)
	v_cmp_eq_u32_e64 s0, s0, v31
	s_and_saveexec_b32 s1, s0
	s_cbranch_execz .LBB6_330
; %bb.325:                              ;   in Loop: Header=BB6_268 Depth=1
	global_load_b64 v[24:25], v3, s[2:3] offset:24 scope:SCOPE_SYS
	s_wait_loadcnt 0x0
	global_inv scope:SCOPE_SYS
	s_clause 0x1
	global_load_b64 v[22:23], v3, s[2:3] offset:40
	global_load_b64 v[26:27], v3, s[2:3]
	s_mov_b32 s10, exec_lo
	s_wait_loadcnt 0x1
	v_and_b32_e32 v2, v23, v25
	v_and_b32_e32 v22, v22, v24
	s_delay_alu instid0(VALU_DEP_2) | instskip(NEXT) | instid1(VALU_DEP_2)
	v_mul_lo_u32 v2, 24, v2
	v_mul_lo_u32 v23, 0, v22
	v_mul_hi_u32 v28, 24, v22
	v_mul_lo_u32 v22, 24, v22
	s_delay_alu instid0(VALU_DEP_3) | instskip(SKIP_1) | instid1(VALU_DEP_2)
	v_add_nc_u32_e32 v2, v2, v23
	s_wait_loadcnt 0x0
	v_add_co_u32 v22, vcc_lo, v26, v22
	s_delay_alu instid0(VALU_DEP_2) | instskip(SKIP_1) | instid1(VALU_DEP_1)
	v_add_nc_u32_e32 v2, v2, v28
	s_wait_alu 0xfffd
	v_add_co_ci_u32_e64 v23, null, v27, v2, vcc_lo
	global_load_b64 v[22:23], v[22:23], off scope:SCOPE_SYS
	s_wait_loadcnt 0x0
	global_atomic_cmpswap_b64 v[26:27], v3, v[22:25], s[2:3] offset:24 th:TH_ATOMIC_RETURN scope:SCOPE_SYS
	s_wait_loadcnt 0x0
	global_inv scope:SCOPE_SYS
	v_cmpx_ne_u64_e64 v[26:27], v[24:25]
	s_cbranch_execz .LBB6_329
; %bb.326:                              ;   in Loop: Header=BB6_268 Depth=1
	s_mov_b32 s11, 0
.LBB6_327:                              ;   Parent Loop BB6_268 Depth=1
                                        ; =>  This Inner Loop Header: Depth=2
	s_sleep 1
	s_clause 0x1
	global_load_b64 v[22:23], v3, s[2:3] offset:40
	global_load_b64 v[28:29], v3, s[2:3]
	v_dual_mov_b32 v24, v26 :: v_dual_mov_b32 v25, v27
	s_wait_loadcnt 0x1
	s_delay_alu instid0(VALU_DEP_1) | instskip(NEXT) | instid1(VALU_DEP_2)
	v_and_b32_e32 v2, v22, v24
	v_and_b32_e32 v22, v23, v25
	s_wait_loadcnt 0x0
	s_delay_alu instid0(VALU_DEP_2) | instskip(NEXT) | instid1(VALU_DEP_1)
	v_mad_co_u64_u32 v[26:27], null, v2, 24, v[28:29]
	v_mov_b32_e32 v2, v27
	s_delay_alu instid0(VALU_DEP_1) | instskip(NEXT) | instid1(VALU_DEP_1)
	v_mad_co_u64_u32 v[22:23], null, v22, 24, v[2:3]
	v_mov_b32_e32 v27, v22
	global_load_b64 v[22:23], v[26:27], off scope:SCOPE_SYS
	s_wait_loadcnt 0x0
	global_atomic_cmpswap_b64 v[26:27], v3, v[22:25], s[2:3] offset:24 th:TH_ATOMIC_RETURN scope:SCOPE_SYS
	s_wait_loadcnt 0x0
	global_inv scope:SCOPE_SYS
	v_cmp_eq_u64_e32 vcc_lo, v[26:27], v[24:25]
	s_wait_alu 0xfffe
	s_or_b32 s11, vcc_lo, s11
	s_wait_alu 0xfffe
	s_and_not1_b32 exec_lo, exec_lo, s11
	s_cbranch_execnz .LBB6_327
; %bb.328:                              ;   in Loop: Header=BB6_268 Depth=1
	s_or_b32 exec_lo, exec_lo, s11
.LBB6_329:                              ;   in Loop: Header=BB6_268 Depth=1
	s_wait_alu 0xfffe
	s_or_b32 exec_lo, exec_lo, s10
.LBB6_330:                              ;   in Loop: Header=BB6_268 Depth=1
	s_wait_alu 0xfffe
	s_or_b32 exec_lo, exec_lo, s1
	s_clause 0x1
	global_load_b64 v[28:29], v3, s[2:3] offset:40
	global_load_b128 v[22:25], v3, s[2:3]
	v_readfirstlane_b32 s11, v27
	v_readfirstlane_b32 s10, v26
	s_mov_b32 s1, exec_lo
	s_wait_loadcnt 0x1
	s_wait_alu 0xf1ff
	v_and_b32_e32 v29, s11, v29
	v_and_b32_e32 v28, s10, v28
	s_delay_alu instid0(VALU_DEP_2) | instskip(NEXT) | instid1(VALU_DEP_2)
	v_mul_lo_u32 v2, 24, v29
	v_mul_lo_u32 v26, 0, v28
	v_mul_hi_u32 v27, 24, v28
	v_mul_lo_u32 v32, 24, v28
	s_delay_alu instid0(VALU_DEP_3) | instskip(SKIP_1) | instid1(VALU_DEP_2)
	v_add_nc_u32_e32 v2, v2, v26
	s_wait_loadcnt 0x0
	v_add_co_u32 v26, vcc_lo, v22, v32
	s_delay_alu instid0(VALU_DEP_2) | instskip(SKIP_1) | instid1(VALU_DEP_1)
	v_add_nc_u32_e32 v2, v2, v27
	s_wait_alu 0xfffd
	v_add_co_ci_u32_e64 v27, null, v23, v2, vcc_lo
	s_and_saveexec_b32 s12, s0
	s_cbranch_execz .LBB6_332
; %bb.331:                              ;   in Loop: Header=BB6_268 Depth=1
	s_wait_alu 0xfffe
	v_mov_b32_e32 v2, s1
	global_store_b128 v[26:27], v[2:5], off offset:8
.LBB6_332:                              ;   in Loop: Header=BB6_268 Depth=1
	s_wait_alu 0xfffe
	s_or_b32 exec_lo, exec_lo, s12
	v_cmp_gt_u64_e64 s1, s[6:7], 56
	v_lshlrev_b64_e32 v[28:29], 12, v[28:29]
	v_and_b32_e32 v2, 0xffffff1f, v6
	s_and_b32 s1, s1, exec_lo
	s_delay_alu instid0(VALU_DEP_2)
	v_add_co_u32 v24, vcc_lo, v24, v28
	s_cselect_b32 s1, 0, 2
	s_wait_alu 0xfffd
	v_add_co_ci_u32_e64 v25, null, v25, v29, vcc_lo
	s_wait_alu 0xfffe
	v_or_b32_e32 v2, s1, v2
	s_lshl_b32 s12, s8, 2
	s_wait_alu 0xfffe
	s_add_co_i32 s1, s12, 28
	v_readfirstlane_b32 s12, v24
	v_readfirstlane_b32 s13, v25
	s_wait_alu 0xfffe
	v_and_or_b32 v6, 0x1e0, s1, v2
	s_clause 0x3
	global_store_b128 v30, v[6:9], s[12:13]
	global_store_b128 v30, v[10:13], s[12:13] offset:16
	global_store_b128 v30, v[14:17], s[12:13] offset:32
	global_store_b128 v30, v[18:21], s[12:13] offset:48
	s_and_saveexec_b32 s1, s0
	s_cbranch_execz .LBB6_340
; %bb.333:                              ;   in Loop: Header=BB6_268 Depth=1
	s_clause 0x1
	global_load_b64 v[14:15], v3, s[2:3] offset:32 scope:SCOPE_SYS
	global_load_b64 v[6:7], v3, s[2:3] offset:40
	v_mov_b32_e32 v12, s10
	s_mov_b32 s12, exec_lo
	s_wait_loadcnt 0x0
	v_dual_mov_b32 v13, s11 :: v_dual_and_b32 v2, s11, v7
	v_and_b32_e32 v6, s10, v6
	s_delay_alu instid0(VALU_DEP_2) | instskip(NEXT) | instid1(VALU_DEP_2)
	v_mul_lo_u32 v2, 24, v2
	v_mul_lo_u32 v7, 0, v6
	v_mul_hi_u32 v8, 24, v6
	v_mul_lo_u32 v6, 24, v6
	s_delay_alu instid0(VALU_DEP_3) | instskip(NEXT) | instid1(VALU_DEP_2)
	v_add_nc_u32_e32 v2, v2, v7
	v_add_co_u32 v10, vcc_lo, v22, v6
	s_delay_alu instid0(VALU_DEP_2) | instskip(SKIP_1) | instid1(VALU_DEP_1)
	v_add_nc_u32_e32 v2, v2, v8
	s_wait_alu 0xfffd
	v_add_co_ci_u32_e64 v11, null, v23, v2, vcc_lo
	global_store_b64 v[10:11], v[14:15], off
	global_wb scope:SCOPE_SYS
	s_wait_storecnt 0x0
	global_atomic_cmpswap_b64 v[8:9], v3, v[12:15], s[2:3] offset:32 th:TH_ATOMIC_RETURN scope:SCOPE_SYS
	s_wait_loadcnt 0x0
	v_cmpx_ne_u64_e64 v[8:9], v[14:15]
	s_cbranch_execz .LBB6_336
; %bb.334:                              ;   in Loop: Header=BB6_268 Depth=1
	s_mov_b32 s13, 0
.LBB6_335:                              ;   Parent Loop BB6_268 Depth=1
                                        ; =>  This Inner Loop Header: Depth=2
	v_dual_mov_b32 v6, s10 :: v_dual_mov_b32 v7, s11
	s_sleep 1
	global_store_b64 v[10:11], v[8:9], off
	global_wb scope:SCOPE_SYS
	s_wait_storecnt 0x0
	global_atomic_cmpswap_b64 v[6:7], v3, v[6:9], s[2:3] offset:32 th:TH_ATOMIC_RETURN scope:SCOPE_SYS
	s_wait_loadcnt 0x0
	v_cmp_eq_u64_e32 vcc_lo, v[6:7], v[8:9]
	v_dual_mov_b32 v9, v7 :: v_dual_mov_b32 v8, v6
	s_wait_alu 0xfffe
	s_or_b32 s13, vcc_lo, s13
	s_wait_alu 0xfffe
	s_and_not1_b32 exec_lo, exec_lo, s13
	s_cbranch_execnz .LBB6_335
.LBB6_336:                              ;   in Loop: Header=BB6_268 Depth=1
	s_wait_alu 0xfffe
	s_or_b32 exec_lo, exec_lo, s12
	global_load_b64 v[6:7], v3, s[2:3] offset:16
	s_mov_b32 s13, exec_lo
	s_mov_b32 s12, exec_lo
	s_wait_alu 0xfffe
	v_mbcnt_lo_u32_b32 v2, s13, 0
	s_delay_alu instid0(VALU_DEP_1)
	v_cmpx_eq_u32_e32 0, v2
	s_cbranch_execz .LBB6_338
; %bb.337:                              ;   in Loop: Header=BB6_268 Depth=1
	s_bcnt1_i32_b32 s13, s13
	s_wait_alu 0xfffe
	v_mov_b32_e32 v2, s13
	global_wb scope:SCOPE_SYS
	s_wait_loadcnt 0x0
	s_wait_storecnt 0x0
	global_atomic_add_u64 v[6:7], v[2:3], off offset:8 scope:SCOPE_SYS
.LBB6_338:                              ;   in Loop: Header=BB6_268 Depth=1
	s_or_b32 exec_lo, exec_lo, s12
	s_wait_loadcnt 0x0
	global_load_b64 v[8:9], v[6:7], off offset:16
	s_wait_loadcnt 0x0
	v_cmp_eq_u64_e32 vcc_lo, 0, v[8:9]
	s_cbranch_vccnz .LBB6_340
; %bb.339:                              ;   in Loop: Header=BB6_268 Depth=1
	global_load_b32 v2, v[6:7], off offset:24
	s_wait_loadcnt 0x0
	v_readfirstlane_b32 s12, v2
	global_wb scope:SCOPE_SYS
	s_wait_storecnt 0x0
	global_store_b64 v[8:9], v[2:3], off scope:SCOPE_SYS
	s_and_b32 m0, s12, 0xffffff
	s_sendmsg sendmsg(MSG_INTERRUPT)
.LBB6_340:                              ;   in Loop: Header=BB6_268 Depth=1
	s_wait_alu 0xfffe
	s_or_b32 exec_lo, exec_lo, s1
	v_add_co_u32 v6, vcc_lo, v24, v30
	s_wait_alu 0xfffd
	v_add_co_ci_u32_e64 v7, null, 0, v25, vcc_lo
	s_branch .LBB6_344
.LBB6_341:                              ;   in Loop: Header=BB6_344 Depth=2
	s_wait_alu 0xfffe
	s_or_b32 exec_lo, exec_lo, s1
	s_delay_alu instid0(VALU_DEP_1)
	v_readfirstlane_b32 s1, v2
	s_cmp_eq_u32 s1, 0
	s_cbranch_scc1 .LBB6_343
; %bb.342:                              ;   in Loop: Header=BB6_344 Depth=2
	s_sleep 1
	s_cbranch_execnz .LBB6_344
	s_branch .LBB6_346
.LBB6_343:                              ;   in Loop: Header=BB6_268 Depth=1
	s_branch .LBB6_346
.LBB6_344:                              ;   Parent Loop BB6_268 Depth=1
                                        ; =>  This Inner Loop Header: Depth=2
	v_mov_b32_e32 v2, 1
	s_and_saveexec_b32 s1, s0
	s_cbranch_execz .LBB6_341
; %bb.345:                              ;   in Loop: Header=BB6_344 Depth=2
	global_load_b32 v2, v[26:27], off offset:20 scope:SCOPE_SYS
	s_wait_loadcnt 0x0
	global_inv scope:SCOPE_SYS
	v_and_b32_e32 v2, 1, v2
	s_branch .LBB6_341
.LBB6_346:                              ;   in Loop: Header=BB6_268 Depth=1
	global_load_b128 v[6:9], v[6:7], off
	s_and_saveexec_b32 s12, s0
	s_cbranch_execz .LBB6_267
; %bb.347:                              ;   in Loop: Header=BB6_268 Depth=1
	s_wait_loadcnt 0x0
	s_clause 0x2
	global_load_b64 v[8:9], v3, s[2:3] offset:40
	global_load_b64 v[16:17], v3, s[2:3] offset:24 scope:SCOPE_SYS
	global_load_b64 v[10:11], v3, s[2:3]
	s_wait_loadcnt 0x2
	v_readfirstlane_b32 s14, v8
	v_readfirstlane_b32 s15, v9
	s_add_nc_u64 s[0:1], s[14:15], 1
	s_wait_alu 0xfffe
	s_add_nc_u64 s[10:11], s[0:1], s[10:11]
	s_wait_alu 0xfffe
	s_cmp_eq_u64 s[10:11], 0
	s_cselect_b32 s1, s1, s11
	s_cselect_b32 s0, s0, s10
	s_wait_alu 0xfffe
	v_dual_mov_b32 v15, s1 :: v_dual_mov_b32 v14, s0
	s_and_b64 s[10:11], s[0:1], s[14:15]
	s_wait_alu 0xfffe
	s_mul_u64 s[10:11], s[10:11], 24
	s_wait_loadcnt 0x0
	s_wait_alu 0xfffe
	v_add_co_u32 v12, vcc_lo, v10, s10
	s_wait_alu 0xfffd
	v_add_co_ci_u32_e64 v13, null, s11, v11, vcc_lo
	global_store_b64 v[12:13], v[16:17], off
	global_wb scope:SCOPE_SYS
	s_wait_storecnt 0x0
	global_atomic_cmpswap_b64 v[10:11], v3, v[14:17], s[2:3] offset:24 th:TH_ATOMIC_RETURN scope:SCOPE_SYS
	s_wait_loadcnt 0x0
	v_cmp_ne_u64_e32 vcc_lo, v[10:11], v[16:17]
	s_and_b32 exec_lo, exec_lo, vcc_lo
	s_cbranch_execz .LBB6_267
; %bb.348:                              ;   in Loop: Header=BB6_268 Depth=1
	s_mov_b32 s10, 0
.LBB6_349:                              ;   Parent Loop BB6_268 Depth=1
                                        ; =>  This Inner Loop Header: Depth=2
	v_dual_mov_b32 v8, s0 :: v_dual_mov_b32 v9, s1
	s_sleep 1
	global_store_b64 v[12:13], v[10:11], off
	global_wb scope:SCOPE_SYS
	s_wait_storecnt 0x0
	global_atomic_cmpswap_b64 v[8:9], v3, v[8:11], s[2:3] offset:24 th:TH_ATOMIC_RETURN scope:SCOPE_SYS
	s_wait_loadcnt 0x0
	v_cmp_eq_u64_e32 vcc_lo, v[8:9], v[10:11]
	v_dual_mov_b32 v11, v9 :: v_dual_mov_b32 v10, v8
	s_wait_alu 0xfffe
	s_or_b32 s10, vcc_lo, s10
	s_wait_alu 0xfffe
	s_and_not1_b32 exec_lo, exec_lo, s10
	s_cbranch_execnz .LBB6_349
	s_branch .LBB6_267
.LBB6_350:
	s_mov_b32 s0, 0
	s_branch .LBB6_352
.LBB6_351:
	s_mov_b32 s0, -1
.LBB6_352:
	s_wait_alu 0xfffe
	s_and_b32 vcc_lo, exec_lo, s0
	s_wait_alu 0xfffe
	s_cbranch_vccz .LBB6_380
; %bb.353:
	v_readfirstlane_b32 s0, v31
	s_wait_loadcnt 0x0
	v_mov_b32_e32 v8, 0
	v_mov_b32_e32 v9, 0
	s_wait_alu 0xf1ff
	v_cmp_eq_u32_e64 s0, s0, v31
	s_and_saveexec_b32 s1, s0
	s_cbranch_execz .LBB6_359
; %bb.354:
	v_mov_b32_e32 v2, 0
	s_mov_b32 s4, exec_lo
	global_load_b64 v[5:6], v2, s[2:3] offset:24 scope:SCOPE_SYS
	s_wait_loadcnt 0x0
	global_inv scope:SCOPE_SYS
	s_clause 0x1
	global_load_b64 v[3:4], v2, s[2:3] offset:40
	global_load_b64 v[7:8], v2, s[2:3]
	s_wait_loadcnt 0x1
	v_and_b32_e32 v4, v4, v6
	v_and_b32_e32 v3, v3, v5
	s_delay_alu instid0(VALU_DEP_2) | instskip(NEXT) | instid1(VALU_DEP_2)
	v_mul_lo_u32 v4, 24, v4
	v_mul_lo_u32 v9, 0, v3
	v_mul_hi_u32 v10, 24, v3
	v_mul_lo_u32 v3, 24, v3
	s_delay_alu instid0(VALU_DEP_3) | instskip(SKIP_1) | instid1(VALU_DEP_2)
	v_add_nc_u32_e32 v4, v4, v9
	s_wait_loadcnt 0x0
	v_add_co_u32 v3, vcc_lo, v7, v3
	s_delay_alu instid0(VALU_DEP_2) | instskip(SKIP_1) | instid1(VALU_DEP_1)
	v_add_nc_u32_e32 v4, v4, v10
	s_wait_alu 0xfffd
	v_add_co_ci_u32_e64 v4, null, v8, v4, vcc_lo
	global_load_b64 v[3:4], v[3:4], off scope:SCOPE_SYS
	s_wait_loadcnt 0x0
	global_atomic_cmpswap_b64 v[8:9], v2, v[3:6], s[2:3] offset:24 th:TH_ATOMIC_RETURN scope:SCOPE_SYS
	s_wait_loadcnt 0x0
	global_inv scope:SCOPE_SYS
	v_cmpx_ne_u64_e64 v[8:9], v[5:6]
	s_cbranch_execz .LBB6_358
; %bb.355:
	s_mov_b32 s5, 0
.LBB6_356:                              ; =>This Inner Loop Header: Depth=1
	s_sleep 1
	s_clause 0x1
	global_load_b64 v[3:4], v2, s[2:3] offset:40
	global_load_b64 v[10:11], v2, s[2:3]
	v_dual_mov_b32 v5, v8 :: v_dual_mov_b32 v6, v9
	s_wait_loadcnt 0x1
	s_delay_alu instid0(VALU_DEP_1) | instskip(NEXT) | instid1(VALU_DEP_2)
	v_and_b32_e32 v3, v3, v5
	v_and_b32_e32 v4, v4, v6
	s_wait_loadcnt 0x0
	s_delay_alu instid0(VALU_DEP_2) | instskip(NEXT) | instid1(VALU_DEP_1)
	v_mad_co_u64_u32 v[7:8], null, v3, 24, v[10:11]
	v_mov_b32_e32 v3, v8
	s_delay_alu instid0(VALU_DEP_1) | instskip(NEXT) | instid1(VALU_DEP_1)
	v_mad_co_u64_u32 v[3:4], null, v4, 24, v[3:4]
	v_mov_b32_e32 v8, v3
	global_load_b64 v[3:4], v[7:8], off scope:SCOPE_SYS
	s_wait_loadcnt 0x0
	global_atomic_cmpswap_b64 v[8:9], v2, v[3:6], s[2:3] offset:24 th:TH_ATOMIC_RETURN scope:SCOPE_SYS
	s_wait_loadcnt 0x0
	global_inv scope:SCOPE_SYS
	v_cmp_eq_u64_e32 vcc_lo, v[8:9], v[5:6]
	s_wait_alu 0xfffe
	s_or_b32 s5, vcc_lo, s5
	s_wait_alu 0xfffe
	s_and_not1_b32 exec_lo, exec_lo, s5
	s_cbranch_execnz .LBB6_356
; %bb.357:
	s_or_b32 exec_lo, exec_lo, s5
.LBB6_358:
	s_wait_alu 0xfffe
	s_or_b32 exec_lo, exec_lo, s4
.LBB6_359:
	s_wait_alu 0xfffe
	s_or_b32 exec_lo, exec_lo, s1
	v_readfirstlane_b32 s5, v9
	v_mov_b32_e32 v2, 0
	v_readfirstlane_b32 s4, v8
	s_mov_b32 s1, exec_lo
	s_clause 0x1
	global_load_b64 v[10:11], v2, s[2:3] offset:40
	global_load_b128 v[4:7], v2, s[2:3]
	s_wait_loadcnt 0x1
	s_wait_alu 0xf1ff
	v_and_b32_e32 v11, s5, v11
	v_and_b32_e32 v10, s4, v10
	s_delay_alu instid0(VALU_DEP_2) | instskip(NEXT) | instid1(VALU_DEP_2)
	v_mul_lo_u32 v3, 24, v11
	v_mul_lo_u32 v8, 0, v10
	v_mul_hi_u32 v9, 24, v10
	v_mul_lo_u32 v12, 24, v10
	s_delay_alu instid0(VALU_DEP_3) | instskip(SKIP_1) | instid1(VALU_DEP_2)
	v_add_nc_u32_e32 v3, v3, v8
	s_wait_loadcnt 0x0
	v_add_co_u32 v8, vcc_lo, v4, v12
	s_delay_alu instid0(VALU_DEP_2) | instskip(SKIP_1) | instid1(VALU_DEP_1)
	v_add_nc_u32_e32 v3, v3, v9
	s_wait_alu 0xfffd
	v_add_co_ci_u32_e64 v9, null, v5, v3, vcc_lo
	s_and_saveexec_b32 s6, s0
	s_cbranch_execz .LBB6_361
; %bb.360:
	s_wait_alu 0xfffe
	v_dual_mov_b32 v12, s1 :: v_dual_mov_b32 v13, v2
	v_dual_mov_b32 v14, 2 :: v_dual_mov_b32 v15, 1
	global_store_b128 v[8:9], v[12:15], off offset:8
.LBB6_361:
	s_wait_alu 0xfffe
	s_or_b32 exec_lo, exec_lo, s6
	v_lshlrev_b64_e32 v[10:11], 12, v[10:11]
	s_mov_b32 s8, 0
	v_and_or_b32 v0, 0xffffff1d, v0, 34
	s_wait_alu 0xfffe
	s_mov_b32 s11, s8
	s_mov_b32 s9, s8
	s_mov_b32 s10, s8
	v_add_co_u32 v6, vcc_lo, v6, v10
	s_wait_alu 0xfffd
	v_add_co_ci_u32_e64 v7, null, v7, v11, vcc_lo
	v_mov_b32_e32 v3, v2
	s_delay_alu instid0(VALU_DEP_3)
	v_readfirstlane_b32 s6, v6
	s_wait_alu 0xfffe
	v_dual_mov_b32 v13, s11 :: v_dual_mov_b32 v10, s8
	v_readfirstlane_b32 s7, v7
	v_dual_mov_b32 v12, s10 :: v_dual_mov_b32 v11, s9
	s_clause 0x3
	global_store_b128 v30, v[0:3], s[6:7]
	global_store_b128 v30, v[10:13], s[6:7] offset:16
	global_store_b128 v30, v[10:13], s[6:7] offset:32
	;; [unrolled: 1-line block ×3, first 2 shown]
	s_and_saveexec_b32 s1, s0
	s_cbranch_execz .LBB6_369
; %bb.362:
	v_mov_b32_e32 v6, 0
	s_mov_b32 s6, exec_lo
	s_clause 0x1
	global_load_b64 v[12:13], v6, s[2:3] offset:32 scope:SCOPE_SYS
	global_load_b64 v[0:1], v6, s[2:3] offset:40
	v_dual_mov_b32 v11, s5 :: v_dual_mov_b32 v10, s4
	s_wait_loadcnt 0x0
	v_and_b32_e32 v1, s5, v1
	v_and_b32_e32 v0, s4, v0
	s_delay_alu instid0(VALU_DEP_2) | instskip(NEXT) | instid1(VALU_DEP_2)
	v_mul_lo_u32 v1, 24, v1
	v_mul_lo_u32 v2, 0, v0
	v_mul_hi_u32 v3, 24, v0
	v_mul_lo_u32 v0, 24, v0
	s_delay_alu instid0(VALU_DEP_3) | instskip(NEXT) | instid1(VALU_DEP_2)
	v_add_nc_u32_e32 v1, v1, v2
	v_add_co_u32 v4, vcc_lo, v4, v0
	s_delay_alu instid0(VALU_DEP_2) | instskip(SKIP_1) | instid1(VALU_DEP_1)
	v_add_nc_u32_e32 v1, v1, v3
	s_wait_alu 0xfffd
	v_add_co_ci_u32_e64 v5, null, v5, v1, vcc_lo
	global_store_b64 v[4:5], v[12:13], off
	global_wb scope:SCOPE_SYS
	s_wait_storecnt 0x0
	global_atomic_cmpswap_b64 v[2:3], v6, v[10:13], s[2:3] offset:32 th:TH_ATOMIC_RETURN scope:SCOPE_SYS
	s_wait_loadcnt 0x0
	v_cmpx_ne_u64_e64 v[2:3], v[12:13]
	s_cbranch_execz .LBB6_365
; %bb.363:
	s_mov_b32 s7, 0
.LBB6_364:                              ; =>This Inner Loop Header: Depth=1
	v_dual_mov_b32 v0, s4 :: v_dual_mov_b32 v1, s5
	s_sleep 1
	global_store_b64 v[4:5], v[2:3], off
	global_wb scope:SCOPE_SYS
	s_wait_storecnt 0x0
	global_atomic_cmpswap_b64 v[0:1], v6, v[0:3], s[2:3] offset:32 th:TH_ATOMIC_RETURN scope:SCOPE_SYS
	s_wait_loadcnt 0x0
	v_cmp_eq_u64_e32 vcc_lo, v[0:1], v[2:3]
	v_dual_mov_b32 v3, v1 :: v_dual_mov_b32 v2, v0
	s_wait_alu 0xfffe
	s_or_b32 s7, vcc_lo, s7
	s_wait_alu 0xfffe
	s_and_not1_b32 exec_lo, exec_lo, s7
	s_cbranch_execnz .LBB6_364
.LBB6_365:
	s_wait_alu 0xfffe
	s_or_b32 exec_lo, exec_lo, s6
	v_mov_b32_e32 v3, 0
	s_mov_b32 s7, exec_lo
	s_mov_b32 s6, exec_lo
	s_wait_alu 0xfffe
	v_mbcnt_lo_u32_b32 v2, s7, 0
	global_load_b64 v[0:1], v3, s[2:3] offset:16
	v_cmpx_eq_u32_e32 0, v2
	s_cbranch_execz .LBB6_367
; %bb.366:
	s_bcnt1_i32_b32 s7, s7
	s_wait_alu 0xfffe
	v_mov_b32_e32 v2, s7
	global_wb scope:SCOPE_SYS
	s_wait_loadcnt 0x0
	s_wait_storecnt 0x0
	global_atomic_add_u64 v[0:1], v[2:3], off offset:8 scope:SCOPE_SYS
.LBB6_367:
	s_or_b32 exec_lo, exec_lo, s6
	s_wait_loadcnt 0x0
	global_load_b64 v[2:3], v[0:1], off offset:16
	s_wait_loadcnt 0x0
	v_cmp_eq_u64_e32 vcc_lo, 0, v[2:3]
	s_cbranch_vccnz .LBB6_369
; %bb.368:
	global_load_b32 v0, v[0:1], off offset:24
	v_mov_b32_e32 v1, 0
	s_wait_loadcnt 0x0
	v_readfirstlane_b32 s6, v0
	global_wb scope:SCOPE_SYS
	s_wait_storecnt 0x0
	global_store_b64 v[2:3], v[0:1], off scope:SCOPE_SYS
	s_and_b32 m0, s6, 0xffffff
	s_sendmsg sendmsg(MSG_INTERRUPT)
.LBB6_369:
	s_wait_alu 0xfffe
	s_or_b32 exec_lo, exec_lo, s1
	s_branch .LBB6_373
.LBB6_370:                              ;   in Loop: Header=BB6_373 Depth=1
	s_wait_alu 0xfffe
	s_or_b32 exec_lo, exec_lo, s1
	s_delay_alu instid0(VALU_DEP_1)
	v_readfirstlane_b32 s1, v0
	s_cmp_eq_u32 s1, 0
	s_cbranch_scc1 .LBB6_372
; %bb.371:                              ;   in Loop: Header=BB6_373 Depth=1
	s_sleep 1
	s_cbranch_execnz .LBB6_373
	s_branch .LBB6_375
.LBB6_372:
	s_branch .LBB6_375
.LBB6_373:                              ; =>This Inner Loop Header: Depth=1
	v_mov_b32_e32 v0, 1
	s_and_saveexec_b32 s1, s0
	s_cbranch_execz .LBB6_370
; %bb.374:                              ;   in Loop: Header=BB6_373 Depth=1
	global_load_b32 v0, v[8:9], off offset:20 scope:SCOPE_SYS
	s_wait_loadcnt 0x0
	global_inv scope:SCOPE_SYS
	v_and_b32_e32 v0, 1, v0
	s_branch .LBB6_370
.LBB6_375:
	s_and_saveexec_b32 s6, s0
	s_cbranch_execz .LBB6_379
; %bb.376:
	v_mov_b32_e32 v6, 0
	s_clause 0x2
	global_load_b64 v[0:1], v6, s[2:3] offset:40
	global_load_b64 v[9:10], v6, s[2:3] offset:24 scope:SCOPE_SYS
	global_load_b64 v[2:3], v6, s[2:3]
	s_wait_loadcnt 0x2
	v_readfirstlane_b32 s8, v0
	v_readfirstlane_b32 s9, v1
	s_add_nc_u64 s[0:1], s[8:9], 1
	s_wait_alu 0xfffe
	s_add_nc_u64 s[4:5], s[0:1], s[4:5]
	s_wait_alu 0xfffe
	s_cmp_eq_u64 s[4:5], 0
	s_cselect_b32 s1, s1, s5
	s_cselect_b32 s0, s0, s4
	s_wait_alu 0xfffe
	v_mov_b32_e32 v8, s1
	s_and_b64 s[4:5], s[0:1], s[8:9]
	v_mov_b32_e32 v7, s0
	s_wait_alu 0xfffe
	s_mul_u64 s[4:5], s[4:5], 24
	s_wait_loadcnt 0x0
	s_wait_alu 0xfffe
	v_add_co_u32 v4, vcc_lo, v2, s4
	s_wait_alu 0xfffd
	v_add_co_ci_u32_e64 v5, null, s5, v3, vcc_lo
	global_store_b64 v[4:5], v[9:10], off
	global_wb scope:SCOPE_SYS
	s_wait_storecnt 0x0
	global_atomic_cmpswap_b64 v[2:3], v6, v[7:10], s[2:3] offset:24 th:TH_ATOMIC_RETURN scope:SCOPE_SYS
	s_wait_loadcnt 0x0
	v_cmp_ne_u64_e32 vcc_lo, v[2:3], v[9:10]
	s_and_b32 exec_lo, exec_lo, vcc_lo
	s_cbranch_execz .LBB6_379
; %bb.377:
	s_mov_b32 s4, 0
.LBB6_378:                              ; =>This Inner Loop Header: Depth=1
	v_dual_mov_b32 v0, s0 :: v_dual_mov_b32 v1, s1
	s_sleep 1
	global_store_b64 v[4:5], v[2:3], off
	global_wb scope:SCOPE_SYS
	s_wait_storecnt 0x0
	global_atomic_cmpswap_b64 v[0:1], v6, v[0:3], s[2:3] offset:24 th:TH_ATOMIC_RETURN scope:SCOPE_SYS
	s_wait_loadcnt 0x0
	v_cmp_eq_u64_e32 vcc_lo, v[0:1], v[2:3]
	v_dual_mov_b32 v3, v1 :: v_dual_mov_b32 v2, v0
	s_wait_alu 0xfffe
	s_or_b32 s4, vcc_lo, s4
	s_wait_alu 0xfffe
	s_and_not1_b32 exec_lo, exec_lo, s4
	s_cbranch_execnz .LBB6_378
.LBB6_379:
	s_wait_alu 0xfffe
	s_or_b32 exec_lo, exec_lo, s6
.LBB6_380:
	s_getpc_b64 s[0:1]
	s_wait_alu 0xfffe
	s_sext_i32_i16 s1, s1
	s_add_co_u32 s0, s0, .str.29@rel32@lo+12
	s_wait_alu 0xfffe
	s_add_co_ci_u32 s1, s1, .str.29@rel32@hi+24
	s_getpc_b64 s[2:3]
	s_wait_alu 0xfffe
	s_sext_i32_i16 s3, s3
	s_add_co_u32 s2, s2, .str.19@rel32@lo+12
	s_wait_alu 0xfffe
	s_add_co_ci_u32 s3, s3, .str.19@rel32@hi+24
	s_getpc_b64 s[4:5]
	s_wait_alu 0xfffe
	s_sext_i32_i16 s5, s5
	s_add_co_u32 s4, s4, __PRETTY_FUNCTION__._ZN7VecsMemIjLi8192EE5fetchEi@rel32@lo+12
	s_wait_alu 0xfffe
	s_add_co_ci_u32 s5, s5, __PRETTY_FUNCTION__._ZN7VecsMemIjLi8192EE5fetchEi@rel32@hi+24
	s_wait_loadcnt 0x0
	v_dual_mov_b32 v0, s0 :: v_dual_mov_b32 v1, s1
	v_dual_mov_b32 v2, s2 :: v_dual_mov_b32 v3, s3
	;; [unrolled: 1-line block ×3, first 2 shown]
	s_wait_alu 0xfffe
	v_mov_b32_e32 v6, s5
	s_getpc_b64 s[6:7]
	s_wait_alu 0xfffe
	s_sext_i32_i16 s7, s7
	s_add_co_u32 s6, s6, __assert_fail@rel32@lo+12
	s_wait_alu 0xfffe
	s_add_co_ci_u32 s7, s7, __assert_fail@rel32@hi+24
	s_mov_b64 s[8:9], s[52:53]
	s_wait_alu 0xfffe
	s_swappc_b64 s[30:31], s[6:7]
	s_or_b32 s0, s18, exec_lo
.LBB6_381:
	s_or_b32 exec_lo, exec_lo, s26
	s_delay_alu instid0(SALU_CYCLE_1)
	s_and_not1_b32 s1, s18, exec_lo
	s_wait_alu 0xfffe
	s_and_b32 s0, s0, exec_lo
	s_wait_alu 0xfffe
	s_or_b32 s26, s1, s0
	s_or_not1_b32 s0, s25, exec_lo
.LBB6_382:
	s_wait_alu 0xfffe
	s_or_b32 exec_lo, exec_lo, s24
	s_mov_b32 s1, 0
	s_and_saveexec_b32 s24, s0
	s_cbranch_execz .LBB6_394
; %bb.383:
	v_mov_b32_e32 v0, 0
	s_mov_b32 s1, exec_lo
	scratch_store_b64 off, v[70:71], s33 offset:144
	v_cmpx_lt_i32_e32 0, v56
	s_cbranch_execz .LBB6_391
; %bb.384:
	v_dual_mov_b32 v1, 0 :: v_dual_mov_b32 v0, 0
	v_dual_mov_b32 v2, v64 :: v_dual_mov_b32 v3, v65
	s_mov_b32 s2, 0
	s_mov_b32 s3, 0
	s_branch .LBB6_386
.LBB6_385:                              ;   in Loop: Header=BB6_386 Depth=1
	s_wait_alu 0xfffe
	s_or_b32 exec_lo, exec_lo, s0
	flat_load_b32 v56, v[54:55] offset:4
	s_add_co_i32 s3, s3, 1
	v_add_co_u32 v2, s0, v2, 4
	s_wait_alu 0xf1ff
	v_add_co_ci_u32_e64 v3, null, 0, v3, s0
	s_wait_loadcnt_dscnt 0x0
	s_wait_alu 0xfffe
	v_cmp_ge_i32_e32 vcc_lo, s3, v56
	s_or_b32 s2, vcc_lo, s2
	s_wait_alu 0xfffe
	s_and_not1_b32 exec_lo, exec_lo, s2
	s_cbranch_execz .LBB6_390
.LBB6_386:                              ; =>This Inner Loop Header: Depth=1
	flat_load_b32 v4, v[2:3]
	s_mov_b32 s0, exec_lo
	s_wait_loadcnt_dscnt 0x0
	v_cmpx_gt_i32_e32 0, v4
	s_wait_alu 0xfffe
	s_xor_b32 s0, exec_lo, s0
	s_cbranch_execz .LBB6_388
; %bb.387:                              ;   in Loop: Header=BB6_386 Depth=1
	v_and_b32_e32 v4, 0x7fffffff, v4
	flat_store_b32 v[2:3], v4
                                        ; implicit-def: $vgpr4
.LBB6_388:                              ;   in Loop: Header=BB6_386 Depth=1
	s_wait_alu 0xfffe
	s_and_not1_saveexec_b32 s0, s0
	s_cbranch_execz .LBB6_385
; %bb.389:                              ;   in Loop: Header=BB6_386 Depth=1
	v_ashrrev_i32_e32 v1, 31, v0
	s_delay_alu instid0(VALU_DEP_1) | instskip(SKIP_1) | instid1(VALU_DEP_1)
	v_lshlrev_b64_e32 v[5:6], 2, v[0:1]
	v_add_nc_u32_e32 v1, 1, v0
	v_mov_b32_e32 v0, v1
	s_delay_alu instid0(VALU_DEP_3) | instskip(SKIP_1) | instid1(VALU_DEP_4)
	v_add_co_u32 v5, vcc_lo, v70, v5
	s_wait_alu 0xfffd
	v_add_co_ci_u32_e64 v6, null, v71, v6, vcc_lo
	flat_store_b32 v[5:6], v4
	s_branch .LBB6_385
.LBB6_390:
	s_or_b32 exec_lo, exec_lo, s2
	scratch_store_b32 off, v1, s33 offset:140
.LBB6_391:
	s_wait_alu 0xfffe
	s_or_b32 exec_lo, exec_lo, s1
	s_mov_b32 s0, -1
	s_mov_b32 s1, s26
	s_mov_b32 s2, exec_lo
	v_cmpx_ne_u32_e64 v69, v0
	s_wait_alu 0xfffe
	s_xor_b32 s25, exec_lo, s2
	s_cbranch_execz .LBB6_393
; %bb.392:
	s_getpc_b64 s[0:1]
	s_wait_alu 0xfffe
	s_sext_i32_i16 s1, s1
	s_add_co_u32 s0, s0, .str.40@rel32@lo+12
	s_wait_alu 0xfffe
	s_add_co_ci_u32 s1, s1, .str.40@rel32@hi+24
	s_getpc_b64 s[2:3]
	s_wait_alu 0xfffe
	s_sext_i32_i16 s3, s3
	s_add_co_u32 s2, s2, .str.31@rel32@lo+12
	s_wait_alu 0xfffe
	s_add_co_ci_u32 s3, s3, .str.31@rel32@hi+24
	s_getpc_b64 s[4:5]
	s_wait_alu 0xfffe
	s_sext_i32_i16 s5, s5
	s_add_co_u32 s4, s4, __PRETTY_FUNCTION__._ZN3sop17sopDivideInternalEPNS_3SopES1_S1_S1_P7VecsMemIjLi8192EE@rel32@lo+12
	s_wait_alu 0xfffe
	s_add_co_ci_u32 s5, s5, __PRETTY_FUNCTION__._ZN3sop17sopDivideInternalEPNS_3SopES1_S1_S1_P7VecsMemIjLi8192EE@rel32@hi+24
	v_dual_mov_b32 v0, s0 :: v_dual_mov_b32 v1, s1
	v_dual_mov_b32 v2, s2 :: v_dual_mov_b32 v3, s3
	;; [unrolled: 1-line block ×3, first 2 shown]
	s_wait_alu 0xfffe
	v_mov_b32_e32 v6, s5
	s_getpc_b64 s[6:7]
	s_wait_alu 0xfffe
	s_sext_i32_i16 s7, s7
	s_add_co_u32 s6, s6, __assert_fail@rel32@lo+12
	s_wait_alu 0xfffe
	s_add_co_ci_u32 s7, s7, __assert_fail@rel32@hi+24
	s_mov_b64 s[8:9], s[52:53]
	s_wait_alu 0xfffc
	s_swappc_b64 s[30:31], s[6:7]
	s_or_b32 s1, s26, exec_lo
	s_xor_b32 s0, exec_lo, -1
.LBB6_393:
	s_wait_alu 0xfffe
	s_or_b32 exec_lo, exec_lo, s25
	s_delay_alu instid0(SALU_CYCLE_1)
	s_and_not1_b32 s2, s26, exec_lo
	s_and_b32 s1, s1, exec_lo
	s_wait_alu 0xfffe
	s_or_b32 s26, s2, s1
	s_and_b32 s1, s0, exec_lo
.LBB6_394:
	s_wait_alu 0xfffe
	s_or_b32 exec_lo, exec_lo, s24
	s_delay_alu instid0(SALU_CYCLE_1)
	s_and_not1_b32 s0, s18, exec_lo
	s_and_b32 s2, s26, exec_lo
	s_and_b32 s24, s1, exec_lo
	s_wait_alu 0xfffe
	s_or_b32 s25, s0, s2
.LBB6_395:
	s_wait_alu 0xfffe
	s_and_not1_saveexec_b32 s23, s23
	s_cbranch_execz .LBB6_397
; %bb.396:
	s_getpc_b64 s[0:1]
	s_wait_alu 0xfffe
	s_sext_i32_i16 s1, s1
	s_add_co_u32 s0, s0, .str.39@rel32@lo+12
	s_wait_alu 0xfffe
	s_add_co_ci_u32 s1, s1, .str.39@rel32@hi+24
	s_getpc_b64 s[2:3]
	s_wait_alu 0xfffe
	s_sext_i32_i16 s3, s3
	s_add_co_u32 s2, s2, .str.31@rel32@lo+12
	s_wait_alu 0xfffe
	s_add_co_ci_u32 s3, s3, .str.31@rel32@hi+24
	s_getpc_b64 s[4:5]
	s_wait_alu 0xfffe
	s_sext_i32_i16 s5, s5
	s_add_co_u32 s4, s4, __PRETTY_FUNCTION__._ZN3sop17sopDivideInternalEPNS_3SopES1_S1_S1_P7VecsMemIjLi8192EE@rel32@lo+12
	s_wait_alu 0xfffe
	s_add_co_ci_u32 s5, s5, __PRETTY_FUNCTION__._ZN3sop17sopDivideInternalEPNS_3SopES1_S1_S1_P7VecsMemIjLi8192EE@rel32@hi+24
	v_dual_mov_b32 v0, s0 :: v_dual_mov_b32 v1, s1
	v_dual_mov_b32 v2, s2 :: v_dual_mov_b32 v3, s3
	;; [unrolled: 1-line block ×3, first 2 shown]
	s_wait_alu 0xfffe
	v_mov_b32_e32 v6, s5
	s_getpc_b64 s[6:7]
	s_wait_alu 0xfffe
	s_sext_i32_i16 s7, s7
	s_add_co_u32 s6, s6, __assert_fail@rel32@lo+12
	s_wait_alu 0xfffe
	s_add_co_ci_u32 s7, s7, __assert_fail@rel32@hi+24
	s_mov_b64 s[8:9], s[52:53]
	scratch_store_b32 off, v81, s33 offset:124
	s_wait_alu 0xfffc
	s_swappc_b64 s[30:31], s[6:7]
	s_or_b32 s25, s25, exec_lo
.LBB6_397:
	s_wait_alu 0xfffe
	s_or_b32 exec_lo, exec_lo, s23
	s_delay_alu instid0(SALU_CYCLE_1)
	s_and_not1_b32 s0, s18, exec_lo
	s_and_b32 s1, s25, exec_lo
	s_wait_alu 0xfffe
	s_or_b32 s18, s0, s1
	s_and_b32 s0, s24, exec_lo
.LBB6_398:
	s_wait_alu 0xfffe
	s_or_b32 exec_lo, exec_lo, s19
	s_delay_alu instid0(SALU_CYCLE_1)
	s_and_not1_b32 s1, s64, exec_lo
	s_and_b32 s2, s18, exec_lo
                                        ; implicit-def: $vgpr70_vgpr71
	s_wait_alu 0xfffe
	s_or_b32 s18, s1, s2
	s_and_b32 s1, s0, exec_lo
	s_or_saveexec_b32 s2, s17
	s_mov_b32 s25, 0
	s_wait_alu 0xfffe
	s_xor_b32 exec_lo, exec_lo, s2
	s_cbranch_execz .LBB6_50
.LBB6_399:
	flat_load_b32 v0, v[44:45]
	s_mov_b32 s0, 0
	s_mov_b32 s4, -1
	s_mov_b32 s5, s1
	s_mov_b32 s3, exec_lo
                                        ; implicit-def: $vgpr68
                                        ; implicit-def: $vgpr66_vgpr67
                                        ; implicit-def: $vgpr64_vgpr65
	v_mov_b32_e32 v57, 0
	scratch_store_b32 off, v57, s33 offset:124
	s_wait_loadcnt_dscnt 0x0
	v_add_nc_u32_e32 v0, v0, v56
	s_delay_alu instid0(VALU_DEP_1)
	v_cmpx_gt_i32_e32 0x2001, v0
	s_cbranch_execz .LBB6_409
; %bb.400:
	flat_load_b32 v10, v[70:71]
	v_ashrrev_i32_e32 v1, 31, v0
	v_lshlrev_b64_e32 v[5:6], 2, v[56:57]
	v_add_nc_u32_e32 v2, v0, v56
	s_mov_b32 s0, -1
	s_mov_b32 s5, s1
	v_lshlrev_b64_e32 v[3:4], 2, v[0:1]
	s_mov_b32 s4, exec_lo
                                        ; implicit-def: $vgpr68
                                        ; implicit-def: $vgpr64_vgpr65
	s_delay_alu instid0(VALU_DEP_1) | instskip(SKIP_1) | instid1(VALU_DEP_2)
	v_add_co_u32 v3, vcc_lo, v44, v3
	s_wait_alu 0xfffd
	v_add_co_ci_u32_e64 v4, null, v45, v4, vcc_lo
	s_delay_alu instid0(VALU_DEP_2) | instskip(SKIP_1) | instid1(VALU_DEP_2)
	v_sub_co_u32 v5, vcc_lo, v3, v5
	s_wait_alu 0xfffd
	v_sub_co_ci_u32_e64 v6, null, v4, v6, vcc_lo
	s_delay_alu instid0(VALU_DEP_2) | instskip(SKIP_1) | instid1(VALU_DEP_2)
	v_add_co_u32 v66, vcc_lo, v5, 4
	s_wait_alu 0xfffd
	v_add_co_ci_u32_e64 v67, null, 0, v6, vcc_lo
	flat_store_b32 v[44:45], v0
	s_clause 0x1
	scratch_store_b64 off, v[66:67], s33 offset:128
	scratch_store_b32 off, v57, s33 offset:140
	v_cmpx_gt_i32_e32 0x2001, v2
	s_cbranch_execz .LBB6_408
; %bb.401:
	flat_load_b64 v[64:65], v[54:55] offset:8
	v_ashrrev_i32_e32 v57, 31, v56
	v_sub_co_u32 v5, s0, 0, v56
	s_wait_alu 0xf1fe
	v_sub_co_ci_u32_e64 v6, null, 0, 0, s0
	s_delay_alu instid0(VALU_DEP_3)
	v_lshlrev_b64_e32 v[7:8], 2, v[56:57]
	s_wait_loadcnt_dscnt 0x102
	v_not_b32_e32 v11, v10
	v_dual_mov_b32 v12, 0 :: v_dual_mov_b32 v15, 0
	v_lshlrev_b64_e32 v[5:6], 2, v[5:6]
	v_mov_b32_e32 v16, 0
	v_add_co_u32 v3, vcc_lo, v3, v7
	s_wait_alu 0xfffd
	v_add_co_ci_u32_e64 v4, null, v4, v8, vcc_lo
	s_mov_b32 s5, 0
	v_add_co_u32 v7, vcc_lo, v3, v5
	s_wait_alu 0xfffd
	v_add_co_ci_u32_e64 v4, null, v4, v6, vcc_lo
	v_ashrrev_i32_e32 v3, 31, v2
	s_delay_alu instid0(VALU_DEP_3) | instskip(SKIP_1) | instid1(VALU_DEP_3)
	v_add_co_u32 v7, vcc_lo, v7, 4
	s_wait_alu 0xfffd
	v_add_co_ci_u32_e64 v8, null, 0, v4, vcc_lo
	v_add_co_u32 v13, vcc_lo, v44, v5
	s_wait_alu 0xfffd
	v_add_co_ci_u32_e64 v14, null, v45, v6, vcc_lo
	v_mov_b32_e32 v6, 0
	s_mov_b32 s6, 0
	flat_store_b32 v[44:45], v2
	scratch_store_b64 off, v[7:8], s33 offset:144
	s_wait_loadcnt_dscnt 0x1
	v_dual_mov_b32 v4, v64 :: v_dual_mov_b32 v5, v65
	s_branch .LBB6_403
.LBB6_402:                              ;   in Loop: Header=BB6_403 Depth=1
	s_or_b32 exec_lo, exec_lo, s0
	v_ashrrev_i32_e32 v7, 31, v6
	v_lshlrev_b64_e32 v[8:9], 2, v[8:9]
	s_add_co_i32 s6, s6, 1
	v_add_co_u32 v4, s0, v4, 4
	s_delay_alu instid0(VALU_DEP_3)
	v_lshlrev_b64_e32 v[6:7], 2, v[6:7]
	s_wait_alu 0xf1ff
	v_add_co_ci_u32_e64 v5, null, 0, v5, s0
	v_add_co_u32 v8, vcc_lo, v13, v8
	s_wait_alu 0xfffd
	v_add_co_ci_u32_e64 v9, null, v14, v9, vcc_lo
	s_delay_alu instid0(VALU_DEP_2) | instskip(SKIP_1) | instid1(VALU_DEP_2)
	v_add_co_u32 v6, vcc_lo, v8, v6
	s_wait_alu 0xfffd
	v_add_co_ci_u32_e64 v7, null, v9, v7, vcc_lo
	flat_store_b32 v[6:7], v17 offset:4
	flat_load_b32 v56, v[54:55] offset:4
	v_mov_b32_e32 v6, v18
	s_wait_loadcnt_dscnt 0x0
	s_wait_alu 0xfffe
	v_cmp_ge_i32_e32 vcc_lo, s6, v56
	s_or_b32 s5, vcc_lo, s5
	s_wait_alu 0xfffe
	s_and_not1_b32 exec_lo, exec_lo, s5
	s_cbranch_execz .LBB6_407
.LBB6_403:                              ; =>This Inner Loop Header: Depth=1
	flat_load_b32 v17, v[4:5]
	s_mov_b32 s0, exec_lo
	s_wait_loadcnt_dscnt 0x0
	v_and_b32_e32 v7, v17, v10
	s_delay_alu instid0(VALU_DEP_1)
	v_cmpx_ne_u32_e64 v7, v10
	s_wait_alu 0xfffe
	s_xor_b32 s0, exec_lo, s0
; %bb.404:                              ;   in Loop: Header=BB6_403 Depth=1
	v_add_nc_u32_e32 v15, 1, v6
; %bb.405:                              ;   in Loop: Header=BB6_403 Depth=1
	s_wait_alu 0xfffe
	s_or_saveexec_b32 s0, s0
	v_dual_mov_b32 v68, v16 :: v_dual_mov_b32 v9, v3
	s_delay_alu instid0(VALU_DEP_2)
	v_mov_b32_e32 v18, v15
	v_mov_b32_e32 v8, v2
	s_wait_alu 0xfffe
	s_xor_b32 exec_lo, exec_lo, s0
	s_cbranch_execz .LBB6_402
; %bb.406:                              ;   in Loop: Header=BB6_403 Depth=1
	v_dual_mov_b32 v9, v1 :: v_dual_add_nc_u32 v12, 1, v16
	v_mov_b32_e32 v18, v6
	v_mov_b32_e32 v6, v16
	;; [unrolled: 1-line block ×3, first 2 shown]
	s_delay_alu instid0(VALU_DEP_4)
	v_dual_mov_b32 v68, v12 :: v_dual_and_b32 v17, v17, v11
	v_mov_b32_e32 v16, v12
	s_branch .LBB6_402
.LBB6_407:
	s_or_b32 exec_lo, exec_lo, s5
	s_delay_alu instid0(SALU_CYCLE_1)
	s_xor_b32 s0, exec_lo, -1
	s_or_b32 s5, s1, exec_lo
	s_clause 0x1
	scratch_store_b32 off, v15, s33 offset:140
	scratch_store_b32 off, v12, s33 offset:124
.LBB6_408:
	s_wait_alu 0xfffe
	s_or_b32 exec_lo, exec_lo, s4
	s_delay_alu instid0(SALU_CYCLE_1)
	s_and_not1_b32 s6, s1, exec_lo
	s_and_b32 s5, s5, exec_lo
	s_xor_b32 s4, exec_lo, -1
	s_and_b32 s0, s0, exec_lo
	s_wait_alu 0xfffe
	s_or_b32 s5, s6, s5
.LBB6_409:
	s_wait_alu 0xfffe
	s_or_b32 exec_lo, exec_lo, s3
	s_delay_alu instid0(SALU_CYCLE_1)
	s_and_not1_b32 s1, s1, exec_lo
	s_and_b32 s3, s5, exec_lo
	s_and_b32 s25, s4, exec_lo
	;; [unrolled: 1-line block ×3, first 2 shown]
	s_wait_alu 0xfffe
	s_or_b32 s1, s1, s3
	s_or_b32 exec_lo, exec_lo, s2
                                        ; implicit-def: $vgpr41
	s_wait_alu 0xfffe
	s_and_saveexec_b32 s26, s1
	s_cbranch_execz .LBB6_2485
.LBB6_410:
	s_mov_b32 s19, s18
	s_mov_b32 s0, exec_lo
	v_cmpx_gt_i32_e32 1, v68
	s_wait_alu 0xfffe
	s_xor_b32 s17, exec_lo, s0
	s_cbranch_execz .LBB6_412
; %bb.411:
	s_getpc_b64 s[0:1]
	s_wait_alu 0xfffe
	s_sext_i32_i16 s1, s1
	s_add_co_u32 s0, s0, .str.34@rel32@lo+12
	s_wait_alu 0xfffe
	s_add_co_ci_u32 s1, s1, .str.34@rel32@hi+24
	s_getpc_b64 s[2:3]
	s_wait_alu 0xfffe
	s_sext_i32_i16 s3, s3
	s_add_co_u32 s2, s2, .str.31@rel32@lo+12
	s_wait_alu 0xfffe
	s_add_co_ci_u32 s3, s3, .str.31@rel32@hi+24
	s_getpc_b64 s[4:5]
	s_wait_alu 0xfffe
	s_sext_i32_i16 s5, s5
	s_add_co_u32 s4, s4, __PRETTY_FUNCTION__._ZN3sop12sopFactorRecEPNS_3SopEiP7VecsMemIjLi8192EEPN8subgUtil4SubgILi256EEE@rel32@lo+12
	s_wait_alu 0xfffe
	s_add_co_ci_u32 s5, s5, __PRETTY_FUNCTION__._ZN3sop12sopFactorRecEPNS_3SopEiP7VecsMemIjLi8192EEPN8subgUtil4SubgILi256EEE@rel32@hi+24
	v_dual_mov_b32 v0, s0 :: v_dual_mov_b32 v1, s1
	v_dual_mov_b32 v2, s2 :: v_dual_mov_b32 v3, s3
	;; [unrolled: 1-line block ×3, first 2 shown]
	s_wait_alu 0xfffe
	v_mov_b32_e32 v6, s5
	s_getpc_b64 s[6:7]
	s_wait_alu 0xfffe
	s_sext_i32_i16 s7, s7
	s_add_co_u32 s6, s6, __assert_fail@rel32@lo+12
	s_wait_alu 0xfffe
	s_add_co_ci_u32 s7, s7, __assert_fail@rel32@hi+24
	s_mov_b64 s[8:9], s[52:53]
	s_wait_alu 0xfffc
	s_swappc_b64 s[30:31], s[6:7]
	s_or_b32 s19, s18, exec_lo
                                        ; implicit-def: $vgpr68
                                        ; implicit-def: $vgpr66_vgpr67
                                        ; implicit-def: $vgpr56
                                        ; implicit-def: $vgpr64_vgpr65
                                        ; implicit-def: $vgpr44_vgpr45
                                        ; implicit-def: $vgpr42_vgpr43
                                        ; implicit-def: $vgpr47
                                        ; implicit-def: $vgpr54_vgpr55
.LBB6_412:
	s_wait_alu 0xfffe
	s_or_saveexec_b32 s27, s17
                                        ; implicit-def: $vgpr41
	s_wait_alu 0xfffe
	s_xor_b32 exec_lo, exec_lo, s27
	s_cbranch_execz .LBB6_2484
; %bb.413:
	s_mov_b32 s29, 0
	s_mov_b32 s24, 0
	;; [unrolled: 1-line block ×3, first 2 shown]
                                        ; implicit-def: $vgpr41
	s_mov_b32 s0, exec_lo
	v_cmpx_ne_u32_e32 1, v68
	s_wait_alu 0xfffe
	s_xor_b32 s40, exec_lo, s0
                                        ; implicit-def: $vgpr59 : SGPR spill to VGPR lane
	s_cbranch_execz .LBB6_1817
; %bb.414:
	v_dual_mov_b32 v0, v66 :: v_dual_mov_b32 v3, v68
	v_dual_mov_b32 v2, -1 :: v_dual_mov_b32 v1, v67
	s_mov_b32 s1, 0
.LBB6_415:                              ; =>This Inner Loop Header: Depth=1
	flat_load_b32 v4, v[0:1]
	v_add_nc_u32_e32 v3, -1, v3
	v_add_co_u32 v0, vcc_lo, v0, 4
	s_wait_alu 0xfffd
	v_add_co_ci_u32_e64 v1, null, 0, v1, vcc_lo
	s_delay_alu instid0(VALU_DEP_3)
	v_cmp_eq_u32_e64 s0, 0, v3
	s_wait_alu 0xfffe
	s_or_b32 s1, s0, s1
	s_wait_loadcnt_dscnt 0x0
	v_and_b32_e32 v2, v4, v2
	s_wait_alu 0xfffe
	s_and_not1_b32 exec_lo, exec_lo, s1
	s_cbranch_execnz .LBB6_415
; %bb.416:
	s_or_b32 exec_lo, exec_lo, s1
	s_mov_b32 s2, 0
	s_mov_b32 s1, exec_lo
	v_cmpx_ne_u32_e32 0, v2
	s_cbranch_execz .LBB6_420
; %bb.417:
	v_not_b32_e32 v2, v2
	v_dual_mov_b32 v0, v66 :: v_dual_mov_b32 v1, v67
	v_mov_b32_e32 v3, v68
.LBB6_418:                              ; =>This Inner Loop Header: Depth=1
	flat_load_b32 v4, v[0:1]
	v_add_nc_u32_e32 v3, -1, v3
	s_delay_alu instid0(VALU_DEP_1)
	v_cmp_eq_u32_e32 vcc_lo, 0, v3
	s_wait_alu 0xfffe
	s_or_b32 s2, vcc_lo, s2
	s_wait_loadcnt_dscnt 0x0
	v_and_b32_e32 v4, v4, v2
	flat_store_b32 v[0:1], v4
	v_add_co_u32 v0, s0, v0, 4
	s_wait_alu 0xf1ff
	v_add_co_ci_u32_e64 v1, null, 0, v1, s0
	s_wait_alu 0xfffe
	s_and_not1_b32 exec_lo, exec_lo, s2
	s_cbranch_execnz .LBB6_418
; %bb.419:
	s_or_b32 exec_lo, exec_lo, s2
	flat_load_b32 v56, v[54:55] offset:4
.LBB6_420:
	s_wait_alu 0xfffe
	s_or_b32 exec_lo, exec_lo, s1
	s_mov_b32 s17, 0
	s_mov_b32 s23, s19
                                        ; implicit-def: $vgpr41
	s_mov_b32 s0, exec_lo
	s_wait_loadcnt_dscnt 0x0
	v_cmpx_ge_i32_e64 v56, v68
	s_wait_alu 0xfffe
	s_xor_b32 s41, exec_lo, s0
	s_cbranch_execz .LBB6_1814
; %bb.421:
	v_dual_mov_b32 v0, 0 :: v_dual_mov_b32 v69, 0
	v_mov_b32_e32 v70, 0
	s_mov_b32 s0, -1
	s_mov_b32 s17, s19
	s_mov_b32 s23, exec_lo
	scratch_store_b32 off, v0, s33 offset:108
	v_cmpx_le_u32_e64 v68, v56
	s_cbranch_execz .LBB6_568
; %bb.422:
	flat_load_b32 v3, v[44:45]
	v_cvt_f32_u32_e32 v0, v68
	v_sub_nc_u32_e32 v1, 0, v68
	s_mov_b32 s24, 0
	s_mov_b32 s0, exec_lo
	v_mov_b32_e32 v69, 0
	v_rcp_iflag_f32_e32 v0, v0
	v_mov_b32_e32 v70, 0
	s_delay_alu instid0(TRANS32_DEP_1) | instskip(NEXT) | instid1(VALU_DEP_1)
	v_mul_f32_e32 v0, 0x4f7ffffe, v0
	v_cvt_u32_f32_e32 v0, v0
	s_delay_alu instid0(VALU_DEP_1) | instskip(NEXT) | instid1(VALU_DEP_1)
	v_mul_lo_u32 v1, v1, v0
	v_mul_hi_u32 v1, v0, v1
	s_delay_alu instid0(VALU_DEP_1) | instskip(NEXT) | instid1(VALU_DEP_1)
	v_add_nc_u32_e32 v0, v0, v1
	v_mad_co_u64_u32 v[0:1], null, v56, v0, 0
	s_delay_alu instid0(VALU_DEP_1) | instskip(SKIP_1) | instid1(VALU_DEP_2)
	v_mul_lo_u32 v0, v1, v68
	v_add_nc_u32_e32 v2, 1, v1
	v_sub_nc_u32_e32 v0, v56, v0
	s_delay_alu instid0(VALU_DEP_1) | instskip(SKIP_2) | instid1(VALU_DEP_2)
	v_sub_nc_u32_e32 v4, v0, v68
	v_cmp_ge_u32_e32 vcc_lo, v0, v68
	s_wait_alu 0xfffd
	v_dual_cndmask_b32 v1, v1, v2 :: v_dual_cndmask_b32 v0, v0, v4
	s_delay_alu instid0(VALU_DEP_1) | instskip(NEXT) | instid1(VALU_DEP_2)
	v_add_nc_u32_e32 v2, 1, v1
	v_cmp_ge_u32_e32 vcc_lo, v0, v68
	s_wait_alu 0xfffd
	s_delay_alu instid0(VALU_DEP_2) | instskip(SKIP_1) | instid1(VALU_DEP_1)
	v_cndmask_b32_e32 v2, v1, v2, vcc_lo
	s_wait_loadcnt_dscnt 0x0
	v_add_nc_u32_e32 v0, v3, v2
	s_delay_alu instid0(VALU_DEP_1)
	v_cmpx_gt_i32_e32 0x2001, v0
	s_wait_alu 0xfffe
	s_xor_b32 s0, exec_lo, s0
	s_cbranch_execz .LBB6_424
; %bb.423:
	v_ashrrev_i32_e32 v1, 31, v0
	v_mov_b32_e32 v3, 0
	s_mov_b32 s24, exec_lo
	flat_store_b32 v[44:45], v0
	v_lshlrev_b64_e32 v[4:5], 2, v[0:1]
	v_lshlrev_b64_e32 v[1:2], 2, v[2:3]
	s_delay_alu instid0(VALU_DEP_2) | instskip(SKIP_1) | instid1(VALU_DEP_3)
	v_add_co_u32 v3, vcc_lo, v44, v4
	s_wait_alu 0xfffd
	v_add_co_ci_u32_e64 v4, null, v45, v5, vcc_lo
	s_delay_alu instid0(VALU_DEP_2) | instskip(SKIP_1) | instid1(VALU_DEP_2)
	v_sub_co_u32 v1, vcc_lo, v3, v1
	s_wait_alu 0xfffd
	v_sub_co_ci_u32_e64 v2, null, v4, v2, vcc_lo
	s_delay_alu instid0(VALU_DEP_2) | instskip(SKIP_1) | instid1(VALU_DEP_2)
	v_add_co_u32 v69, vcc_lo, v1, 4
	s_wait_alu 0xfffd
	v_add_co_ci_u32_e64 v70, null, 0, v2, vcc_lo
.LBB6_424:
	s_wait_alu 0xfffe
	s_or_saveexec_b32 s17, s0
	s_mov_b32 s0, s19
	s_wait_alu 0xfffe
	s_xor_b32 exec_lo, exec_lo, s17
	s_cbranch_execz .LBB6_567
; %bb.425:
	s_load_b64 s[2:3], s[52:53], 0x50
	v_mbcnt_lo_u32_b32 v31, -1, 0
	v_mov_b32_e32 v6, 0
	v_mov_b32_e32 v7, 0
	s_delay_alu instid0(VALU_DEP_3) | instskip(SKIP_1) | instid1(VALU_DEP_1)
	v_readfirstlane_b32 s0, v31
	s_wait_alu 0xf1ff
	v_cmp_eq_u32_e64 s0, s0, v31
	s_and_saveexec_b32 s1, s0
	s_cbranch_execz .LBB6_431
; %bb.426:
	v_mov_b32_e32 v0, 0
	s_mov_b32 s4, exec_lo
	s_wait_kmcnt 0x0
	global_load_b64 v[3:4], v0, s[2:3] offset:24 scope:SCOPE_SYS
	s_wait_loadcnt 0x0
	global_inv scope:SCOPE_SYS
	s_clause 0x1
	global_load_b64 v[1:2], v0, s[2:3] offset:40
	global_load_b64 v[5:6], v0, s[2:3]
	s_wait_loadcnt 0x1
	v_and_b32_e32 v2, v2, v4
	v_and_b32_e32 v1, v1, v3
	s_delay_alu instid0(VALU_DEP_2) | instskip(NEXT) | instid1(VALU_DEP_2)
	v_mul_lo_u32 v2, 24, v2
	v_mul_lo_u32 v7, 0, v1
	v_mul_hi_u32 v8, 24, v1
	v_mul_lo_u32 v1, 24, v1
	s_delay_alu instid0(VALU_DEP_3) | instskip(SKIP_1) | instid1(VALU_DEP_2)
	v_add_nc_u32_e32 v2, v2, v7
	s_wait_loadcnt 0x0
	v_add_co_u32 v1, vcc_lo, v5, v1
	s_delay_alu instid0(VALU_DEP_2) | instskip(SKIP_1) | instid1(VALU_DEP_1)
	v_add_nc_u32_e32 v2, v2, v8
	s_wait_alu 0xfffd
	v_add_co_ci_u32_e64 v2, null, v6, v2, vcc_lo
	global_load_b64 v[1:2], v[1:2], off scope:SCOPE_SYS
	s_wait_loadcnt 0x0
	global_atomic_cmpswap_b64 v[6:7], v0, v[1:4], s[2:3] offset:24 th:TH_ATOMIC_RETURN scope:SCOPE_SYS
	s_wait_loadcnt 0x0
	global_inv scope:SCOPE_SYS
	v_cmpx_ne_u64_e64 v[6:7], v[3:4]
	s_cbranch_execz .LBB6_430
; %bb.427:
	s_mov_b32 s5, 0
.LBB6_428:                              ; =>This Inner Loop Header: Depth=1
	s_sleep 1
	s_clause 0x1
	global_load_b64 v[1:2], v0, s[2:3] offset:40
	global_load_b64 v[8:9], v0, s[2:3]
	v_dual_mov_b32 v3, v6 :: v_dual_mov_b32 v4, v7
	s_wait_loadcnt 0x1
	s_delay_alu instid0(VALU_DEP_1) | instskip(NEXT) | instid1(VALU_DEP_2)
	v_and_b32_e32 v1, v1, v3
	v_and_b32_e32 v2, v2, v4
	s_wait_loadcnt 0x0
	s_delay_alu instid0(VALU_DEP_2) | instskip(NEXT) | instid1(VALU_DEP_1)
	v_mad_co_u64_u32 v[5:6], null, v1, 24, v[8:9]
	v_mov_b32_e32 v1, v6
	s_delay_alu instid0(VALU_DEP_1) | instskip(NEXT) | instid1(VALU_DEP_1)
	v_mad_co_u64_u32 v[1:2], null, v2, 24, v[1:2]
	v_mov_b32_e32 v6, v1
	global_load_b64 v[1:2], v[5:6], off scope:SCOPE_SYS
	s_wait_loadcnt 0x0
	global_atomic_cmpswap_b64 v[6:7], v0, v[1:4], s[2:3] offset:24 th:TH_ATOMIC_RETURN scope:SCOPE_SYS
	s_wait_loadcnt 0x0
	global_inv scope:SCOPE_SYS
	v_cmp_eq_u64_e32 vcc_lo, v[6:7], v[3:4]
	s_wait_alu 0xfffe
	s_or_b32 s5, vcc_lo, s5
	s_wait_alu 0xfffe
	s_and_not1_b32 exec_lo, exec_lo, s5
	s_cbranch_execnz .LBB6_428
; %bb.429:
	s_or_b32 exec_lo, exec_lo, s5
.LBB6_430:
	s_wait_alu 0xfffe
	s_or_b32 exec_lo, exec_lo, s4
.LBB6_431:
	s_wait_alu 0xfffe
	s_or_b32 exec_lo, exec_lo, s1
	v_readfirstlane_b32 s4, v6
	v_mov_b32_e32 v5, 0
	v_readfirstlane_b32 s5, v7
	s_mov_b32 s1, exec_lo
	s_wait_kmcnt 0x0
	s_clause 0x1
	global_load_b64 v[8:9], v5, s[2:3] offset:40
	global_load_b128 v[0:3], v5, s[2:3]
	s_wait_loadcnt 0x1
	s_wait_alu 0xf1ff
	v_and_b32_e32 v11, s5, v9
	v_and_b32_e32 v10, s4, v8
	s_delay_alu instid0(VALU_DEP_2) | instskip(NEXT) | instid1(VALU_DEP_2)
	v_mul_lo_u32 v4, 24, v11
	v_mul_lo_u32 v6, 0, v10
	v_mul_hi_u32 v7, 24, v10
	v_mul_lo_u32 v8, 24, v10
	s_delay_alu instid0(VALU_DEP_3) | instskip(SKIP_1) | instid1(VALU_DEP_2)
	v_add_nc_u32_e32 v4, v4, v6
	s_wait_loadcnt 0x0
	v_add_co_u32 v8, vcc_lo, v0, v8
	s_delay_alu instid0(VALU_DEP_2) | instskip(SKIP_1) | instid1(VALU_DEP_1)
	v_add_nc_u32_e32 v4, v4, v7
	s_wait_alu 0xfffd
	v_add_co_ci_u32_e64 v9, null, v1, v4, vcc_lo
	s_and_saveexec_b32 s6, s0
	s_cbranch_execz .LBB6_433
; %bb.432:
	s_wait_alu 0xfffe
	v_dual_mov_b32 v4, s1 :: v_dual_mov_b32 v7, 1
	v_mov_b32_e32 v6, 2
	global_store_b128 v[8:9], v[4:7], off offset:8
.LBB6_433:
	s_wait_alu 0xfffe
	s_or_b32 exec_lo, exec_lo, s6
	v_lshlrev_b64_e32 v[10:11], 12, v[10:11]
	v_dual_mov_b32 v7, v5 :: v_dual_lshlrev_b32 v30, 6, v31
	s_mov_b32 s8, 0
	s_wait_alu 0xfffe
	s_mov_b32 s11, s8
	s_delay_alu instid0(VALU_DEP_2)
	v_add_co_u32 v2, vcc_lo, v2, v10
	s_wait_alu 0xfffd
	v_add_co_ci_u32_e64 v3, null, v3, v11, vcc_lo
	s_mov_b32 s9, s8
	v_add_co_u32 v10, vcc_lo, v2, v30
	s_mov_b32 s10, s8
	s_wait_alu 0xfffe
	v_dual_mov_b32 v4, 33 :: v_dual_mov_b32 v15, s11
	v_dual_mov_b32 v6, v5 :: v_dual_mov_b32 v13, s9
	v_readfirstlane_b32 s6, v2
	v_readfirstlane_b32 s7, v3
	s_wait_alu 0xfffd
	v_add_co_ci_u32_e64 v11, null, 0, v3, vcc_lo
	v_mov_b32_e32 v14, s10
	v_mov_b32_e32 v12, s8
	s_clause 0x3
	global_store_b128 v30, v[4:7], s[6:7]
	global_store_b128 v30, v[12:15], s[6:7] offset:16
	global_store_b128 v30, v[12:15], s[6:7] offset:32
	;; [unrolled: 1-line block ×3, first 2 shown]
	s_and_saveexec_b32 s1, s0
	s_cbranch_execz .LBB6_441
; %bb.434:
	v_mov_b32_e32 v6, 0
	s_mov_b32 s6, exec_lo
	s_clause 0x1
	global_load_b64 v[14:15], v6, s[2:3] offset:32 scope:SCOPE_SYS
	global_load_b64 v[2:3], v6, s[2:3] offset:40
	v_dual_mov_b32 v13, s5 :: v_dual_mov_b32 v12, s4
	s_wait_loadcnt 0x0
	v_and_b32_e32 v3, s5, v3
	v_and_b32_e32 v2, s4, v2
	s_delay_alu instid0(VALU_DEP_2) | instskip(NEXT) | instid1(VALU_DEP_2)
	v_mul_lo_u32 v3, 24, v3
	v_mul_lo_u32 v4, 0, v2
	v_mul_hi_u32 v5, 24, v2
	v_mul_lo_u32 v2, 24, v2
	s_delay_alu instid0(VALU_DEP_3) | instskip(NEXT) | instid1(VALU_DEP_2)
	v_add_nc_u32_e32 v3, v3, v4
	v_add_co_u32 v4, vcc_lo, v0, v2
	s_delay_alu instid0(VALU_DEP_2) | instskip(SKIP_1) | instid1(VALU_DEP_1)
	v_add_nc_u32_e32 v3, v3, v5
	s_wait_alu 0xfffd
	v_add_co_ci_u32_e64 v5, null, v1, v3, vcc_lo
	global_store_b64 v[4:5], v[14:15], off
	global_wb scope:SCOPE_SYS
	s_wait_storecnt 0x0
	global_atomic_cmpswap_b64 v[2:3], v6, v[12:15], s[2:3] offset:32 th:TH_ATOMIC_RETURN scope:SCOPE_SYS
	s_wait_loadcnt 0x0
	v_cmpx_ne_u64_e64 v[2:3], v[14:15]
	s_cbranch_execz .LBB6_437
; %bb.435:
	s_mov_b32 s7, 0
.LBB6_436:                              ; =>This Inner Loop Header: Depth=1
	v_dual_mov_b32 v0, s4 :: v_dual_mov_b32 v1, s5
	s_sleep 1
	global_store_b64 v[4:5], v[2:3], off
	global_wb scope:SCOPE_SYS
	s_wait_storecnt 0x0
	global_atomic_cmpswap_b64 v[0:1], v6, v[0:3], s[2:3] offset:32 th:TH_ATOMIC_RETURN scope:SCOPE_SYS
	s_wait_loadcnt 0x0
	v_cmp_eq_u64_e32 vcc_lo, v[0:1], v[2:3]
	v_dual_mov_b32 v3, v1 :: v_dual_mov_b32 v2, v0
	s_wait_alu 0xfffe
	s_or_b32 s7, vcc_lo, s7
	s_wait_alu 0xfffe
	s_and_not1_b32 exec_lo, exec_lo, s7
	s_cbranch_execnz .LBB6_436
.LBB6_437:
	s_wait_alu 0xfffe
	s_or_b32 exec_lo, exec_lo, s6
	v_mov_b32_e32 v3, 0
	s_mov_b32 s7, exec_lo
	s_mov_b32 s6, exec_lo
	s_wait_alu 0xfffe
	v_mbcnt_lo_u32_b32 v2, s7, 0
	global_load_b64 v[0:1], v3, s[2:3] offset:16
	v_cmpx_eq_u32_e32 0, v2
	s_cbranch_execz .LBB6_439
; %bb.438:
	s_bcnt1_i32_b32 s7, s7
	s_wait_alu 0xfffe
	v_mov_b32_e32 v2, s7
	global_wb scope:SCOPE_SYS
	s_wait_loadcnt 0x0
	s_wait_storecnt 0x0
	global_atomic_add_u64 v[0:1], v[2:3], off offset:8 scope:SCOPE_SYS
.LBB6_439:
	s_or_b32 exec_lo, exec_lo, s6
	s_wait_loadcnt 0x0
	global_load_b64 v[2:3], v[0:1], off offset:16
	s_wait_loadcnt 0x0
	v_cmp_eq_u64_e32 vcc_lo, 0, v[2:3]
	s_cbranch_vccnz .LBB6_441
; %bb.440:
	global_load_b32 v0, v[0:1], off offset:24
	v_mov_b32_e32 v1, 0
	s_wait_loadcnt 0x0
	v_readfirstlane_b32 s6, v0
	global_wb scope:SCOPE_SYS
	s_wait_storecnt 0x0
	global_store_b64 v[2:3], v[0:1], off scope:SCOPE_SYS
	s_and_b32 m0, s6, 0xffffff
	s_sendmsg sendmsg(MSG_INTERRUPT)
.LBB6_441:
	s_wait_alu 0xfffe
	s_or_b32 exec_lo, exec_lo, s1
	s_branch .LBB6_445
.LBB6_442:                              ;   in Loop: Header=BB6_445 Depth=1
	s_wait_alu 0xfffe
	s_or_b32 exec_lo, exec_lo, s1
	s_delay_alu instid0(VALU_DEP_1)
	v_readfirstlane_b32 s1, v0
	s_cmp_eq_u32 s1, 0
	s_cbranch_scc1 .LBB6_444
; %bb.443:                              ;   in Loop: Header=BB6_445 Depth=1
	s_sleep 1
	s_cbranch_execnz .LBB6_445
	s_branch .LBB6_447
.LBB6_444:
	s_branch .LBB6_447
.LBB6_445:                              ; =>This Inner Loop Header: Depth=1
	v_mov_b32_e32 v0, 1
	s_and_saveexec_b32 s1, s0
	s_cbranch_execz .LBB6_442
; %bb.446:                              ;   in Loop: Header=BB6_445 Depth=1
	global_load_b32 v0, v[8:9], off offset:20 scope:SCOPE_SYS
	s_wait_loadcnt 0x0
	global_inv scope:SCOPE_SYS
	v_and_b32_e32 v0, 1, v0
	s_branch .LBB6_442
.LBB6_447:
	global_load_b64 v[0:1], v[10:11], off
	s_and_saveexec_b32 s6, s0
	s_cbranch_execz .LBB6_451
; %bb.448:
	v_mov_b32_e32 v8, 0
	s_clause 0x2
	global_load_b64 v[2:3], v8, s[2:3] offset:40
	global_load_b64 v[11:12], v8, s[2:3] offset:24 scope:SCOPE_SYS
	global_load_b64 v[4:5], v8, s[2:3]
	s_wait_loadcnt 0x2
	v_readfirstlane_b32 s8, v2
	v_readfirstlane_b32 s9, v3
	s_add_nc_u64 s[0:1], s[8:9], 1
	s_wait_alu 0xfffe
	s_add_nc_u64 s[4:5], s[0:1], s[4:5]
	s_wait_alu 0xfffe
	s_cmp_eq_u64 s[4:5], 0
	s_cselect_b32 s1, s1, s5
	s_cselect_b32 s0, s0, s4
	s_wait_alu 0xfffe
	v_mov_b32_e32 v10, s1
	s_and_b64 s[4:5], s[0:1], s[8:9]
	v_mov_b32_e32 v9, s0
	s_wait_alu 0xfffe
	s_mul_u64 s[4:5], s[4:5], 24
	s_wait_loadcnt 0x0
	s_wait_alu 0xfffe
	v_add_co_u32 v6, vcc_lo, v4, s4
	s_wait_alu 0xfffd
	v_add_co_ci_u32_e64 v7, null, s5, v5, vcc_lo
	global_store_b64 v[6:7], v[11:12], off
	global_wb scope:SCOPE_SYS
	s_wait_storecnt 0x0
	global_atomic_cmpswap_b64 v[4:5], v8, v[9:12], s[2:3] offset:24 th:TH_ATOMIC_RETURN scope:SCOPE_SYS
	s_wait_loadcnt 0x0
	v_cmp_ne_u64_e32 vcc_lo, v[4:5], v[11:12]
	s_and_b32 exec_lo, exec_lo, vcc_lo
	s_cbranch_execz .LBB6_451
; %bb.449:
	s_mov_b32 s4, 0
.LBB6_450:                              ; =>This Inner Loop Header: Depth=1
	v_dual_mov_b32 v2, s0 :: v_dual_mov_b32 v3, s1
	s_sleep 1
	global_store_b64 v[6:7], v[4:5], off
	global_wb scope:SCOPE_SYS
	s_wait_storecnt 0x0
	global_atomic_cmpswap_b64 v[2:3], v8, v[2:5], s[2:3] offset:24 th:TH_ATOMIC_RETURN scope:SCOPE_SYS
	s_wait_loadcnt 0x0
	v_cmp_eq_u64_e32 vcc_lo, v[2:3], v[4:5]
	v_dual_mov_b32 v5, v3 :: v_dual_mov_b32 v4, v2
	s_wait_alu 0xfffe
	s_or_b32 s4, vcc_lo, s4
	s_wait_alu 0xfffe
	s_and_not1_b32 exec_lo, exec_lo, s4
	s_cbranch_execnz .LBB6_450
.LBB6_451:
	s_wait_alu 0xfffe
	s_or_b32 exec_lo, exec_lo, s6
	s_getpc_b64 s[4:5]
	s_wait_alu 0xfffe
	s_sext_i32_i16 s5, s5
	s_add_co_u32 s4, s4, .str.28@rel32@lo+12
	s_wait_alu 0xfffe
	s_add_co_ci_u32 s5, s5, .str.28@rel32@hi+24
	s_wait_alu 0xfffe
	s_cmp_lg_u64 s[4:5], 0
	s_cbranch_scc0 .LBB6_537
; %bb.452:
	s_wait_loadcnt 0x0
	v_dual_mov_b32 v7, v1 :: v_dual_and_b32 v6, -3, v0
	v_dual_mov_b32 v3, 0 :: v_dual_mov_b32 v4, 2
	v_mov_b32_e32 v5, 1
	s_mov_b64 s[6:7], 35
	s_branch .LBB6_454
.LBB6_453:                              ;   in Loop: Header=BB6_454 Depth=1
	s_wait_alu 0xfffe
	s_or_b32 exec_lo, exec_lo, s12
	s_sub_nc_u64 s[6:7], s[6:7], s[8:9]
	s_add_nc_u64 s[4:5], s[4:5], s[8:9]
	s_wait_alu 0xfffe
	s_cmp_lg_u64 s[6:7], 0
	s_cbranch_scc0 .LBB6_536
.LBB6_454:                              ; =>This Loop Header: Depth=1
                                        ;     Child Loop BB6_457 Depth 2
                                        ;     Child Loop BB6_465 Depth 2
	;; [unrolled: 1-line block ×11, first 2 shown]
	s_wait_alu 0xfffe
	v_cmp_lt_u64_e64 s0, s[6:7], 56
	v_cmp_gt_u64_e64 s1, s[6:7], 7
	s_and_b32 s0, s0, exec_lo
	s_cselect_b32 s9, s7, 0
	s_cselect_b32 s8, s6, 56
	s_and_b32 vcc_lo, exec_lo, s1
	s_wait_alu 0xfffe
	s_cbranch_vccnz .LBB6_459
; %bb.455:                              ;   in Loop: Header=BB6_454 Depth=1
	s_wait_loadcnt 0x0
	v_mov_b32_e32 v8, 0
	v_mov_b32_e32 v9, 0
	s_cmp_eq_u64 s[6:7], 0
	s_cbranch_scc1 .LBB6_458
; %bb.456:                              ;   in Loop: Header=BB6_454 Depth=1
	s_mov_b64 s[0:1], 0
	s_mov_b64 s[10:11], 0
.LBB6_457:                              ;   Parent Loop BB6_454 Depth=1
                                        ; =>  This Inner Loop Header: Depth=2
	s_wait_alu 0xfffe
	s_add_nc_u64 s[12:13], s[4:5], s[10:11]
	s_add_nc_u64 s[10:11], s[10:11], 1
	global_load_u8 v2, v3, s[12:13]
	s_wait_alu 0xfffe
	s_cmp_lg_u32 s8, s10
	s_wait_loadcnt 0x0
	v_and_b32_e32 v2, 0xffff, v2
	s_delay_alu instid0(VALU_DEP_1) | instskip(SKIP_1) | instid1(VALU_DEP_1)
	v_lshlrev_b64_e32 v[10:11], s0, v[2:3]
	s_add_nc_u64 s[0:1], s[0:1], 8
	v_or_b32_e32 v8, v10, v8
	s_delay_alu instid0(VALU_DEP_2)
	v_or_b32_e32 v9, v11, v9
	s_cbranch_scc1 .LBB6_457
.LBB6_458:                              ;   in Loop: Header=BB6_454 Depth=1
	s_mov_b32 s0, 0
	s_mov_b64 s[10:11], s[4:5]
	s_branch .LBB6_460
.LBB6_459:                              ;   in Loop: Header=BB6_454 Depth=1
	s_add_nc_u64 s[10:11], s[4:5], 8
	s_mov_b32 s0, -1
.LBB6_460:                              ;   in Loop: Header=BB6_454 Depth=1
	s_wait_alu 0xfffe
	s_and_not1_b32 vcc_lo, exec_lo, s0
	s_mov_b32 s14, 0
	s_wait_alu 0xfffe
	s_cbranch_vccnz .LBB6_462
; %bb.461:                              ;   in Loop: Header=BB6_454 Depth=1
	s_wait_loadcnt 0x0
	global_load_b64 v[8:9], v3, s[4:5]
	s_add_co_i32 s14, s8, -8
.LBB6_462:                              ;   in Loop: Header=BB6_454 Depth=1
	s_wait_alu 0xfffe
	s_cmp_gt_u32 s14, 7
	s_cbranch_scc1 .LBB6_467
; %bb.463:                              ;   in Loop: Header=BB6_454 Depth=1
	v_mov_b32_e32 v10, 0
	v_mov_b32_e32 v11, 0
	s_cmp_eq_u32 s14, 0
	s_cbranch_scc1 .LBB6_466
; %bb.464:                              ;   in Loop: Header=BB6_454 Depth=1
	s_mov_b64 s[0:1], 0
	s_mov_b64 s[12:13], 0
.LBB6_465:                              ;   Parent Loop BB6_454 Depth=1
                                        ; =>  This Inner Loop Header: Depth=2
	s_wait_alu 0xfffe
	s_add_nc_u64 s[42:43], s[10:11], s[12:13]
	s_add_nc_u64 s[12:13], s[12:13], 1
	global_load_u8 v2, v3, s[42:43]
	s_wait_alu 0xfffe
	s_cmp_lg_u32 s14, s12
	s_wait_loadcnt 0x0
	v_and_b32_e32 v2, 0xffff, v2
	s_delay_alu instid0(VALU_DEP_1) | instskip(SKIP_1) | instid1(VALU_DEP_1)
	v_lshlrev_b64_e32 v[12:13], s0, v[2:3]
	s_add_nc_u64 s[0:1], s[0:1], 8
	v_or_b32_e32 v10, v12, v10
	s_delay_alu instid0(VALU_DEP_2)
	v_or_b32_e32 v11, v13, v11
	s_cbranch_scc1 .LBB6_465
.LBB6_466:                              ;   in Loop: Header=BB6_454 Depth=1
	s_mov_b32 s12, 0
	s_mov_b64 s[0:1], s[10:11]
	s_branch .LBB6_468
.LBB6_467:                              ;   in Loop: Header=BB6_454 Depth=1
	s_add_nc_u64 s[0:1], s[10:11], 8
	s_mov_b32 s12, -1
                                        ; implicit-def: $vgpr10_vgpr11
.LBB6_468:                              ;   in Loop: Header=BB6_454 Depth=1
	s_wait_alu 0xfffe
	s_and_not1_b32 vcc_lo, exec_lo, s12
	s_mov_b32 s15, 0
	s_wait_alu 0xfffe
	s_cbranch_vccnz .LBB6_470
; %bb.469:                              ;   in Loop: Header=BB6_454 Depth=1
	global_load_b64 v[10:11], v3, s[10:11]
	s_add_co_i32 s15, s14, -8
.LBB6_470:                              ;   in Loop: Header=BB6_454 Depth=1
	s_wait_alu 0xfffe
	s_cmp_gt_u32 s15, 7
	s_cbranch_scc1 .LBB6_475
; %bb.471:                              ;   in Loop: Header=BB6_454 Depth=1
	v_mov_b32_e32 v12, 0
	v_mov_b32_e32 v13, 0
	s_cmp_eq_u32 s15, 0
	s_cbranch_scc1 .LBB6_474
; %bb.472:                              ;   in Loop: Header=BB6_454 Depth=1
	s_mov_b64 s[10:11], 0
	s_mov_b64 s[12:13], 0
.LBB6_473:                              ;   Parent Loop BB6_454 Depth=1
                                        ; =>  This Inner Loop Header: Depth=2
	s_wait_alu 0xfffe
	s_add_nc_u64 s[42:43], s[0:1], s[12:13]
	s_add_nc_u64 s[12:13], s[12:13], 1
	global_load_u8 v2, v3, s[42:43]
	s_wait_alu 0xfffe
	s_cmp_lg_u32 s15, s12
	s_wait_loadcnt 0x0
	v_and_b32_e32 v2, 0xffff, v2
	s_delay_alu instid0(VALU_DEP_1) | instskip(SKIP_1) | instid1(VALU_DEP_1)
	v_lshlrev_b64_e32 v[14:15], s10, v[2:3]
	s_add_nc_u64 s[10:11], s[10:11], 8
	v_or_b32_e32 v12, v14, v12
	s_delay_alu instid0(VALU_DEP_2)
	v_or_b32_e32 v13, v15, v13
	s_cbranch_scc1 .LBB6_473
.LBB6_474:                              ;   in Loop: Header=BB6_454 Depth=1
	s_mov_b32 s12, 0
	s_mov_b64 s[10:11], s[0:1]
	s_branch .LBB6_476
.LBB6_475:                              ;   in Loop: Header=BB6_454 Depth=1
	s_add_nc_u64 s[10:11], s[0:1], 8
	s_mov_b32 s12, -1
.LBB6_476:                              ;   in Loop: Header=BB6_454 Depth=1
	s_wait_alu 0xfffe
	s_and_not1_b32 vcc_lo, exec_lo, s12
	s_mov_b32 s14, 0
	s_wait_alu 0xfffe
	s_cbranch_vccnz .LBB6_478
; %bb.477:                              ;   in Loop: Header=BB6_454 Depth=1
	global_load_b64 v[12:13], v3, s[0:1]
	s_add_co_i32 s14, s15, -8
.LBB6_478:                              ;   in Loop: Header=BB6_454 Depth=1
	s_wait_alu 0xfffe
	s_cmp_gt_u32 s14, 7
	s_cbranch_scc1 .LBB6_483
; %bb.479:                              ;   in Loop: Header=BB6_454 Depth=1
	v_mov_b32_e32 v14, 0
	v_mov_b32_e32 v15, 0
	s_cmp_eq_u32 s14, 0
	s_cbranch_scc1 .LBB6_482
; %bb.480:                              ;   in Loop: Header=BB6_454 Depth=1
	s_mov_b64 s[0:1], 0
	s_mov_b64 s[12:13], 0
.LBB6_481:                              ;   Parent Loop BB6_454 Depth=1
                                        ; =>  This Inner Loop Header: Depth=2
	s_wait_alu 0xfffe
	s_add_nc_u64 s[42:43], s[10:11], s[12:13]
	s_add_nc_u64 s[12:13], s[12:13], 1
	global_load_u8 v2, v3, s[42:43]
	s_wait_alu 0xfffe
	s_cmp_lg_u32 s14, s12
	s_wait_loadcnt 0x0
	v_and_b32_e32 v2, 0xffff, v2
	s_delay_alu instid0(VALU_DEP_1) | instskip(SKIP_1) | instid1(VALU_DEP_1)
	v_lshlrev_b64_e32 v[16:17], s0, v[2:3]
	s_add_nc_u64 s[0:1], s[0:1], 8
	v_or_b32_e32 v14, v16, v14
	s_delay_alu instid0(VALU_DEP_2)
	v_or_b32_e32 v15, v17, v15
	s_cbranch_scc1 .LBB6_481
.LBB6_482:                              ;   in Loop: Header=BB6_454 Depth=1
	s_mov_b32 s12, 0
	s_mov_b64 s[0:1], s[10:11]
	s_branch .LBB6_484
.LBB6_483:                              ;   in Loop: Header=BB6_454 Depth=1
	s_add_nc_u64 s[0:1], s[10:11], 8
	s_mov_b32 s12, -1
                                        ; implicit-def: $vgpr14_vgpr15
.LBB6_484:                              ;   in Loop: Header=BB6_454 Depth=1
	s_wait_alu 0xfffe
	s_and_not1_b32 vcc_lo, exec_lo, s12
	s_mov_b32 s15, 0
	s_wait_alu 0xfffe
	s_cbranch_vccnz .LBB6_486
; %bb.485:                              ;   in Loop: Header=BB6_454 Depth=1
	global_load_b64 v[14:15], v3, s[10:11]
	s_add_co_i32 s15, s14, -8
.LBB6_486:                              ;   in Loop: Header=BB6_454 Depth=1
	s_wait_alu 0xfffe
	s_cmp_gt_u32 s15, 7
	s_cbranch_scc1 .LBB6_491
; %bb.487:                              ;   in Loop: Header=BB6_454 Depth=1
	v_mov_b32_e32 v16, 0
	v_mov_b32_e32 v17, 0
	s_cmp_eq_u32 s15, 0
	s_cbranch_scc1 .LBB6_490
; %bb.488:                              ;   in Loop: Header=BB6_454 Depth=1
	s_mov_b64 s[10:11], 0
	s_mov_b64 s[12:13], 0
.LBB6_489:                              ;   Parent Loop BB6_454 Depth=1
                                        ; =>  This Inner Loop Header: Depth=2
	s_wait_alu 0xfffe
	s_add_nc_u64 s[42:43], s[0:1], s[12:13]
	s_add_nc_u64 s[12:13], s[12:13], 1
	global_load_u8 v2, v3, s[42:43]
	s_wait_alu 0xfffe
	s_cmp_lg_u32 s15, s12
	s_wait_loadcnt 0x0
	v_and_b32_e32 v2, 0xffff, v2
	s_delay_alu instid0(VALU_DEP_1) | instskip(SKIP_1) | instid1(VALU_DEP_1)
	v_lshlrev_b64_e32 v[18:19], s10, v[2:3]
	s_add_nc_u64 s[10:11], s[10:11], 8
	v_or_b32_e32 v16, v18, v16
	s_delay_alu instid0(VALU_DEP_2)
	v_or_b32_e32 v17, v19, v17
	s_cbranch_scc1 .LBB6_489
.LBB6_490:                              ;   in Loop: Header=BB6_454 Depth=1
	s_mov_b32 s12, 0
	s_mov_b64 s[10:11], s[0:1]
	s_branch .LBB6_492
.LBB6_491:                              ;   in Loop: Header=BB6_454 Depth=1
	s_add_nc_u64 s[10:11], s[0:1], 8
	s_mov_b32 s12, -1
.LBB6_492:                              ;   in Loop: Header=BB6_454 Depth=1
	s_wait_alu 0xfffe
	s_and_not1_b32 vcc_lo, exec_lo, s12
	s_mov_b32 s14, 0
	s_wait_alu 0xfffe
	s_cbranch_vccnz .LBB6_494
; %bb.493:                              ;   in Loop: Header=BB6_454 Depth=1
	global_load_b64 v[16:17], v3, s[0:1]
	s_add_co_i32 s14, s15, -8
.LBB6_494:                              ;   in Loop: Header=BB6_454 Depth=1
	s_wait_alu 0xfffe
	s_cmp_gt_u32 s14, 7
	s_cbranch_scc1 .LBB6_499
; %bb.495:                              ;   in Loop: Header=BB6_454 Depth=1
	v_mov_b32_e32 v18, 0
	v_mov_b32_e32 v19, 0
	s_cmp_eq_u32 s14, 0
	s_cbranch_scc1 .LBB6_498
; %bb.496:                              ;   in Loop: Header=BB6_454 Depth=1
	s_mov_b64 s[0:1], 0
	s_mov_b64 s[12:13], 0
.LBB6_497:                              ;   Parent Loop BB6_454 Depth=1
                                        ; =>  This Inner Loop Header: Depth=2
	s_wait_alu 0xfffe
	s_add_nc_u64 s[42:43], s[10:11], s[12:13]
	s_add_nc_u64 s[12:13], s[12:13], 1
	global_load_u8 v2, v3, s[42:43]
	s_wait_alu 0xfffe
	s_cmp_lg_u32 s14, s12
	s_wait_loadcnt 0x0
	v_and_b32_e32 v2, 0xffff, v2
	s_delay_alu instid0(VALU_DEP_1) | instskip(SKIP_1) | instid1(VALU_DEP_1)
	v_lshlrev_b64_e32 v[20:21], s0, v[2:3]
	s_add_nc_u64 s[0:1], s[0:1], 8
	v_or_b32_e32 v18, v20, v18
	s_delay_alu instid0(VALU_DEP_2)
	v_or_b32_e32 v19, v21, v19
	s_cbranch_scc1 .LBB6_497
.LBB6_498:                              ;   in Loop: Header=BB6_454 Depth=1
	s_mov_b32 s12, 0
	s_mov_b64 s[0:1], s[10:11]
	s_branch .LBB6_500
.LBB6_499:                              ;   in Loop: Header=BB6_454 Depth=1
	s_add_nc_u64 s[0:1], s[10:11], 8
	s_mov_b32 s12, -1
                                        ; implicit-def: $vgpr18_vgpr19
.LBB6_500:                              ;   in Loop: Header=BB6_454 Depth=1
	s_wait_alu 0xfffe
	s_and_not1_b32 vcc_lo, exec_lo, s12
	s_mov_b32 s15, 0
	s_wait_alu 0xfffe
	s_cbranch_vccnz .LBB6_502
; %bb.501:                              ;   in Loop: Header=BB6_454 Depth=1
	global_load_b64 v[18:19], v3, s[10:11]
	s_add_co_i32 s15, s14, -8
.LBB6_502:                              ;   in Loop: Header=BB6_454 Depth=1
	s_wait_alu 0xfffe
	s_cmp_gt_u32 s15, 7
	s_cbranch_scc1 .LBB6_507
; %bb.503:                              ;   in Loop: Header=BB6_454 Depth=1
	v_mov_b32_e32 v20, 0
	v_mov_b32_e32 v21, 0
	s_cmp_eq_u32 s15, 0
	s_cbranch_scc1 .LBB6_506
; %bb.504:                              ;   in Loop: Header=BB6_454 Depth=1
	s_mov_b64 s[10:11], 0
	s_mov_b64 s[12:13], s[0:1]
.LBB6_505:                              ;   Parent Loop BB6_454 Depth=1
                                        ; =>  This Inner Loop Header: Depth=2
	global_load_u8 v2, v3, s[12:13]
	s_add_co_i32 s15, s15, -1
	s_wait_alu 0xfffe
	s_add_nc_u64 s[12:13], s[12:13], 1
	s_cmp_lg_u32 s15, 0
	s_wait_loadcnt 0x0
	v_and_b32_e32 v2, 0xffff, v2
	s_delay_alu instid0(VALU_DEP_1) | instskip(SKIP_1) | instid1(VALU_DEP_1)
	v_lshlrev_b64_e32 v[22:23], s10, v[2:3]
	s_add_nc_u64 s[10:11], s[10:11], 8
	v_or_b32_e32 v20, v22, v20
	s_delay_alu instid0(VALU_DEP_2)
	v_or_b32_e32 v21, v23, v21
	s_cbranch_scc1 .LBB6_505
.LBB6_506:                              ;   in Loop: Header=BB6_454 Depth=1
	s_mov_b32 s10, 0
	s_branch .LBB6_508
.LBB6_507:                              ;   in Loop: Header=BB6_454 Depth=1
	s_mov_b32 s10, -1
.LBB6_508:                              ;   in Loop: Header=BB6_454 Depth=1
	s_wait_alu 0xfffe
	s_and_not1_b32 vcc_lo, exec_lo, s10
	s_wait_alu 0xfffe
	s_cbranch_vccnz .LBB6_510
; %bb.509:                              ;   in Loop: Header=BB6_454 Depth=1
	global_load_b64 v[20:21], v3, s[0:1]
.LBB6_510:                              ;   in Loop: Header=BB6_454 Depth=1
	v_readfirstlane_b32 s0, v31
	v_mov_b32_e32 v26, 0
	v_mov_b32_e32 v27, 0
	s_wait_alu 0xf1ff
	s_delay_alu instid0(VALU_DEP_3)
	v_cmp_eq_u32_e64 s0, s0, v31
	s_and_saveexec_b32 s1, s0
	s_cbranch_execz .LBB6_516
; %bb.511:                              ;   in Loop: Header=BB6_454 Depth=1
	global_load_b64 v[24:25], v3, s[2:3] offset:24 scope:SCOPE_SYS
	s_wait_loadcnt 0x0
	global_inv scope:SCOPE_SYS
	s_clause 0x1
	global_load_b64 v[22:23], v3, s[2:3] offset:40
	global_load_b64 v[26:27], v3, s[2:3]
	s_mov_b32 s10, exec_lo
	s_wait_loadcnt 0x1
	v_and_b32_e32 v2, v23, v25
	v_and_b32_e32 v22, v22, v24
	s_delay_alu instid0(VALU_DEP_2) | instskip(NEXT) | instid1(VALU_DEP_2)
	v_mul_lo_u32 v2, 24, v2
	v_mul_lo_u32 v23, 0, v22
	v_mul_hi_u32 v28, 24, v22
	v_mul_lo_u32 v22, 24, v22
	s_delay_alu instid0(VALU_DEP_3) | instskip(SKIP_1) | instid1(VALU_DEP_2)
	v_add_nc_u32_e32 v2, v2, v23
	s_wait_loadcnt 0x0
	v_add_co_u32 v22, vcc_lo, v26, v22
	s_delay_alu instid0(VALU_DEP_2) | instskip(SKIP_1) | instid1(VALU_DEP_1)
	v_add_nc_u32_e32 v2, v2, v28
	s_wait_alu 0xfffd
	v_add_co_ci_u32_e64 v23, null, v27, v2, vcc_lo
	global_load_b64 v[22:23], v[22:23], off scope:SCOPE_SYS
	s_wait_loadcnt 0x0
	global_atomic_cmpswap_b64 v[26:27], v3, v[22:25], s[2:3] offset:24 th:TH_ATOMIC_RETURN scope:SCOPE_SYS
	s_wait_loadcnt 0x0
	global_inv scope:SCOPE_SYS
	v_cmpx_ne_u64_e64 v[26:27], v[24:25]
	s_cbranch_execz .LBB6_515
; %bb.512:                              ;   in Loop: Header=BB6_454 Depth=1
	s_mov_b32 s11, 0
.LBB6_513:                              ;   Parent Loop BB6_454 Depth=1
                                        ; =>  This Inner Loop Header: Depth=2
	s_sleep 1
	s_clause 0x1
	global_load_b64 v[22:23], v3, s[2:3] offset:40
	global_load_b64 v[28:29], v3, s[2:3]
	v_dual_mov_b32 v24, v26 :: v_dual_mov_b32 v25, v27
	s_wait_loadcnt 0x1
	s_delay_alu instid0(VALU_DEP_1) | instskip(NEXT) | instid1(VALU_DEP_2)
	v_and_b32_e32 v2, v22, v24
	v_and_b32_e32 v22, v23, v25
	s_wait_loadcnt 0x0
	s_delay_alu instid0(VALU_DEP_2) | instskip(NEXT) | instid1(VALU_DEP_1)
	v_mad_co_u64_u32 v[26:27], null, v2, 24, v[28:29]
	v_mov_b32_e32 v2, v27
	s_delay_alu instid0(VALU_DEP_1) | instskip(NEXT) | instid1(VALU_DEP_1)
	v_mad_co_u64_u32 v[22:23], null, v22, 24, v[2:3]
	v_mov_b32_e32 v27, v22
	global_load_b64 v[22:23], v[26:27], off scope:SCOPE_SYS
	s_wait_loadcnt 0x0
	global_atomic_cmpswap_b64 v[26:27], v3, v[22:25], s[2:3] offset:24 th:TH_ATOMIC_RETURN scope:SCOPE_SYS
	s_wait_loadcnt 0x0
	global_inv scope:SCOPE_SYS
	v_cmp_eq_u64_e32 vcc_lo, v[26:27], v[24:25]
	s_wait_alu 0xfffe
	s_or_b32 s11, vcc_lo, s11
	s_wait_alu 0xfffe
	s_and_not1_b32 exec_lo, exec_lo, s11
	s_cbranch_execnz .LBB6_513
; %bb.514:                              ;   in Loop: Header=BB6_454 Depth=1
	s_or_b32 exec_lo, exec_lo, s11
.LBB6_515:                              ;   in Loop: Header=BB6_454 Depth=1
	s_wait_alu 0xfffe
	s_or_b32 exec_lo, exec_lo, s10
.LBB6_516:                              ;   in Loop: Header=BB6_454 Depth=1
	s_wait_alu 0xfffe
	s_or_b32 exec_lo, exec_lo, s1
	s_clause 0x1
	global_load_b64 v[28:29], v3, s[2:3] offset:40
	global_load_b128 v[22:25], v3, s[2:3]
	v_readfirstlane_b32 s11, v27
	v_readfirstlane_b32 s10, v26
	s_mov_b32 s1, exec_lo
	s_wait_loadcnt 0x1
	s_wait_alu 0xf1ff
	v_and_b32_e32 v29, s11, v29
	v_and_b32_e32 v28, s10, v28
	s_delay_alu instid0(VALU_DEP_2) | instskip(NEXT) | instid1(VALU_DEP_2)
	v_mul_lo_u32 v2, 24, v29
	v_mul_lo_u32 v26, 0, v28
	v_mul_hi_u32 v27, 24, v28
	v_mul_lo_u32 v32, 24, v28
	s_delay_alu instid0(VALU_DEP_3) | instskip(SKIP_1) | instid1(VALU_DEP_2)
	v_add_nc_u32_e32 v2, v2, v26
	s_wait_loadcnt 0x0
	v_add_co_u32 v26, vcc_lo, v22, v32
	s_delay_alu instid0(VALU_DEP_2) | instskip(SKIP_1) | instid1(VALU_DEP_1)
	v_add_nc_u32_e32 v2, v2, v27
	s_wait_alu 0xfffd
	v_add_co_ci_u32_e64 v27, null, v23, v2, vcc_lo
	s_and_saveexec_b32 s12, s0
	s_cbranch_execz .LBB6_518
; %bb.517:                              ;   in Loop: Header=BB6_454 Depth=1
	s_wait_alu 0xfffe
	v_mov_b32_e32 v2, s1
	global_store_b128 v[26:27], v[2:5], off offset:8
.LBB6_518:                              ;   in Loop: Header=BB6_454 Depth=1
	s_wait_alu 0xfffe
	s_or_b32 exec_lo, exec_lo, s12
	v_cmp_gt_u64_e64 s1, s[6:7], 56
	v_lshlrev_b64_e32 v[28:29], 12, v[28:29]
	v_and_b32_e32 v2, 0xffffff1f, v6
	s_and_b32 s1, s1, exec_lo
	s_delay_alu instid0(VALU_DEP_2)
	v_add_co_u32 v24, vcc_lo, v24, v28
	s_cselect_b32 s1, 0, 2
	s_wait_alu 0xfffd
	v_add_co_ci_u32_e64 v25, null, v25, v29, vcc_lo
	s_wait_alu 0xfffe
	v_or_b32_e32 v2, s1, v2
	s_lshl_b32 s12, s8, 2
	s_wait_alu 0xfffe
	s_add_co_i32 s1, s12, 28
	v_readfirstlane_b32 s12, v24
	v_readfirstlane_b32 s13, v25
	s_wait_alu 0xfffe
	v_and_or_b32 v6, 0x1e0, s1, v2
	s_clause 0x3
	global_store_b128 v30, v[6:9], s[12:13]
	global_store_b128 v30, v[10:13], s[12:13] offset:16
	global_store_b128 v30, v[14:17], s[12:13] offset:32
	;; [unrolled: 1-line block ×3, first 2 shown]
	s_and_saveexec_b32 s1, s0
	s_cbranch_execz .LBB6_526
; %bb.519:                              ;   in Loop: Header=BB6_454 Depth=1
	s_clause 0x1
	global_load_b64 v[14:15], v3, s[2:3] offset:32 scope:SCOPE_SYS
	global_load_b64 v[6:7], v3, s[2:3] offset:40
	v_mov_b32_e32 v12, s10
	s_mov_b32 s12, exec_lo
	s_wait_loadcnt 0x0
	v_dual_mov_b32 v13, s11 :: v_dual_and_b32 v2, s11, v7
	v_and_b32_e32 v6, s10, v6
	s_delay_alu instid0(VALU_DEP_2) | instskip(NEXT) | instid1(VALU_DEP_2)
	v_mul_lo_u32 v2, 24, v2
	v_mul_lo_u32 v7, 0, v6
	v_mul_hi_u32 v8, 24, v6
	v_mul_lo_u32 v6, 24, v6
	s_delay_alu instid0(VALU_DEP_3) | instskip(NEXT) | instid1(VALU_DEP_2)
	v_add_nc_u32_e32 v2, v2, v7
	v_add_co_u32 v10, vcc_lo, v22, v6
	s_delay_alu instid0(VALU_DEP_2) | instskip(SKIP_1) | instid1(VALU_DEP_1)
	v_add_nc_u32_e32 v2, v2, v8
	s_wait_alu 0xfffd
	v_add_co_ci_u32_e64 v11, null, v23, v2, vcc_lo
	global_store_b64 v[10:11], v[14:15], off
	global_wb scope:SCOPE_SYS
	s_wait_storecnt 0x0
	global_atomic_cmpswap_b64 v[8:9], v3, v[12:15], s[2:3] offset:32 th:TH_ATOMIC_RETURN scope:SCOPE_SYS
	s_wait_loadcnt 0x0
	v_cmpx_ne_u64_e64 v[8:9], v[14:15]
	s_cbranch_execz .LBB6_522
; %bb.520:                              ;   in Loop: Header=BB6_454 Depth=1
	s_mov_b32 s13, 0
.LBB6_521:                              ;   Parent Loop BB6_454 Depth=1
                                        ; =>  This Inner Loop Header: Depth=2
	v_dual_mov_b32 v6, s10 :: v_dual_mov_b32 v7, s11
	s_sleep 1
	global_store_b64 v[10:11], v[8:9], off
	global_wb scope:SCOPE_SYS
	s_wait_storecnt 0x0
	global_atomic_cmpswap_b64 v[6:7], v3, v[6:9], s[2:3] offset:32 th:TH_ATOMIC_RETURN scope:SCOPE_SYS
	s_wait_loadcnt 0x0
	v_cmp_eq_u64_e32 vcc_lo, v[6:7], v[8:9]
	v_dual_mov_b32 v9, v7 :: v_dual_mov_b32 v8, v6
	s_wait_alu 0xfffe
	s_or_b32 s13, vcc_lo, s13
	s_wait_alu 0xfffe
	s_and_not1_b32 exec_lo, exec_lo, s13
	s_cbranch_execnz .LBB6_521
.LBB6_522:                              ;   in Loop: Header=BB6_454 Depth=1
	s_wait_alu 0xfffe
	s_or_b32 exec_lo, exec_lo, s12
	global_load_b64 v[6:7], v3, s[2:3] offset:16
	s_mov_b32 s13, exec_lo
	s_mov_b32 s12, exec_lo
	s_wait_alu 0xfffe
	v_mbcnt_lo_u32_b32 v2, s13, 0
	s_delay_alu instid0(VALU_DEP_1)
	v_cmpx_eq_u32_e32 0, v2
	s_cbranch_execz .LBB6_524
; %bb.523:                              ;   in Loop: Header=BB6_454 Depth=1
	s_bcnt1_i32_b32 s13, s13
	s_wait_alu 0xfffe
	v_mov_b32_e32 v2, s13
	global_wb scope:SCOPE_SYS
	s_wait_loadcnt 0x0
	s_wait_storecnt 0x0
	global_atomic_add_u64 v[6:7], v[2:3], off offset:8 scope:SCOPE_SYS
.LBB6_524:                              ;   in Loop: Header=BB6_454 Depth=1
	s_or_b32 exec_lo, exec_lo, s12
	s_wait_loadcnt 0x0
	global_load_b64 v[8:9], v[6:7], off offset:16
	s_wait_loadcnt 0x0
	v_cmp_eq_u64_e32 vcc_lo, 0, v[8:9]
	s_cbranch_vccnz .LBB6_526
; %bb.525:                              ;   in Loop: Header=BB6_454 Depth=1
	global_load_b32 v2, v[6:7], off offset:24
	s_wait_loadcnt 0x0
	v_readfirstlane_b32 s12, v2
	global_wb scope:SCOPE_SYS
	s_wait_storecnt 0x0
	global_store_b64 v[8:9], v[2:3], off scope:SCOPE_SYS
	s_and_b32 m0, s12, 0xffffff
	s_sendmsg sendmsg(MSG_INTERRUPT)
.LBB6_526:                              ;   in Loop: Header=BB6_454 Depth=1
	s_wait_alu 0xfffe
	s_or_b32 exec_lo, exec_lo, s1
	v_add_co_u32 v6, vcc_lo, v24, v30
	s_wait_alu 0xfffd
	v_add_co_ci_u32_e64 v7, null, 0, v25, vcc_lo
	s_branch .LBB6_530
.LBB6_527:                              ;   in Loop: Header=BB6_530 Depth=2
	s_wait_alu 0xfffe
	s_or_b32 exec_lo, exec_lo, s1
	s_delay_alu instid0(VALU_DEP_1)
	v_readfirstlane_b32 s1, v2
	s_cmp_eq_u32 s1, 0
	s_cbranch_scc1 .LBB6_529
; %bb.528:                              ;   in Loop: Header=BB6_530 Depth=2
	s_sleep 1
	s_cbranch_execnz .LBB6_530
	s_branch .LBB6_532
.LBB6_529:                              ;   in Loop: Header=BB6_454 Depth=1
	s_branch .LBB6_532
.LBB6_530:                              ;   Parent Loop BB6_454 Depth=1
                                        ; =>  This Inner Loop Header: Depth=2
	v_mov_b32_e32 v2, 1
	s_and_saveexec_b32 s1, s0
	s_cbranch_execz .LBB6_527
; %bb.531:                              ;   in Loop: Header=BB6_530 Depth=2
	global_load_b32 v2, v[26:27], off offset:20 scope:SCOPE_SYS
	s_wait_loadcnt 0x0
	global_inv scope:SCOPE_SYS
	v_and_b32_e32 v2, 1, v2
	s_branch .LBB6_527
.LBB6_532:                              ;   in Loop: Header=BB6_454 Depth=1
	global_load_b128 v[6:9], v[6:7], off
	s_and_saveexec_b32 s12, s0
	s_cbranch_execz .LBB6_453
; %bb.533:                              ;   in Loop: Header=BB6_454 Depth=1
	s_wait_loadcnt 0x0
	s_clause 0x2
	global_load_b64 v[8:9], v3, s[2:3] offset:40
	global_load_b64 v[16:17], v3, s[2:3] offset:24 scope:SCOPE_SYS
	global_load_b64 v[10:11], v3, s[2:3]
	s_wait_loadcnt 0x2
	v_readfirstlane_b32 s14, v8
	v_readfirstlane_b32 s15, v9
	s_add_nc_u64 s[0:1], s[14:15], 1
	s_wait_alu 0xfffe
	s_add_nc_u64 s[10:11], s[0:1], s[10:11]
	s_wait_alu 0xfffe
	s_cmp_eq_u64 s[10:11], 0
	s_cselect_b32 s1, s1, s11
	s_cselect_b32 s0, s0, s10
	s_wait_alu 0xfffe
	v_dual_mov_b32 v15, s1 :: v_dual_mov_b32 v14, s0
	s_and_b64 s[10:11], s[0:1], s[14:15]
	s_wait_alu 0xfffe
	s_mul_u64 s[10:11], s[10:11], 24
	s_wait_loadcnt 0x0
	s_wait_alu 0xfffe
	v_add_co_u32 v12, vcc_lo, v10, s10
	s_wait_alu 0xfffd
	v_add_co_ci_u32_e64 v13, null, s11, v11, vcc_lo
	global_store_b64 v[12:13], v[16:17], off
	global_wb scope:SCOPE_SYS
	s_wait_storecnt 0x0
	global_atomic_cmpswap_b64 v[10:11], v3, v[14:17], s[2:3] offset:24 th:TH_ATOMIC_RETURN scope:SCOPE_SYS
	s_wait_loadcnt 0x0
	v_cmp_ne_u64_e32 vcc_lo, v[10:11], v[16:17]
	s_and_b32 exec_lo, exec_lo, vcc_lo
	s_cbranch_execz .LBB6_453
; %bb.534:                              ;   in Loop: Header=BB6_454 Depth=1
	s_mov_b32 s10, 0
.LBB6_535:                              ;   Parent Loop BB6_454 Depth=1
                                        ; =>  This Inner Loop Header: Depth=2
	v_dual_mov_b32 v8, s0 :: v_dual_mov_b32 v9, s1
	s_sleep 1
	global_store_b64 v[12:13], v[10:11], off
	global_wb scope:SCOPE_SYS
	s_wait_storecnt 0x0
	global_atomic_cmpswap_b64 v[8:9], v3, v[8:11], s[2:3] offset:24 th:TH_ATOMIC_RETURN scope:SCOPE_SYS
	s_wait_loadcnt 0x0
	v_cmp_eq_u64_e32 vcc_lo, v[8:9], v[10:11]
	v_dual_mov_b32 v11, v9 :: v_dual_mov_b32 v10, v8
	s_wait_alu 0xfffe
	s_or_b32 s10, vcc_lo, s10
	s_wait_alu 0xfffe
	s_and_not1_b32 exec_lo, exec_lo, s10
	s_cbranch_execnz .LBB6_535
	s_branch .LBB6_453
.LBB6_536:
	s_mov_b32 s0, 0
	s_branch .LBB6_538
.LBB6_537:
	s_mov_b32 s0, -1
.LBB6_538:
	s_wait_alu 0xfffe
	s_and_b32 vcc_lo, exec_lo, s0
	s_wait_alu 0xfffe
	s_cbranch_vccz .LBB6_566
; %bb.539:
	v_readfirstlane_b32 s0, v31
	s_wait_loadcnt 0x0
	v_mov_b32_e32 v8, 0
	v_mov_b32_e32 v9, 0
	s_wait_alu 0xf1ff
	v_cmp_eq_u32_e64 s0, s0, v31
	s_and_saveexec_b32 s1, s0
	s_cbranch_execz .LBB6_545
; %bb.540:
	v_mov_b32_e32 v2, 0
	s_mov_b32 s4, exec_lo
	global_load_b64 v[5:6], v2, s[2:3] offset:24 scope:SCOPE_SYS
	s_wait_loadcnt 0x0
	global_inv scope:SCOPE_SYS
	s_clause 0x1
	global_load_b64 v[3:4], v2, s[2:3] offset:40
	global_load_b64 v[7:8], v2, s[2:3]
	s_wait_loadcnt 0x1
	v_and_b32_e32 v4, v4, v6
	v_and_b32_e32 v3, v3, v5
	s_delay_alu instid0(VALU_DEP_2) | instskip(NEXT) | instid1(VALU_DEP_2)
	v_mul_lo_u32 v4, 24, v4
	v_mul_lo_u32 v9, 0, v3
	v_mul_hi_u32 v10, 24, v3
	v_mul_lo_u32 v3, 24, v3
	s_delay_alu instid0(VALU_DEP_3) | instskip(SKIP_1) | instid1(VALU_DEP_2)
	v_add_nc_u32_e32 v4, v4, v9
	s_wait_loadcnt 0x0
	v_add_co_u32 v3, vcc_lo, v7, v3
	s_delay_alu instid0(VALU_DEP_2) | instskip(SKIP_1) | instid1(VALU_DEP_1)
	v_add_nc_u32_e32 v4, v4, v10
	s_wait_alu 0xfffd
	v_add_co_ci_u32_e64 v4, null, v8, v4, vcc_lo
	global_load_b64 v[3:4], v[3:4], off scope:SCOPE_SYS
	s_wait_loadcnt 0x0
	global_atomic_cmpswap_b64 v[8:9], v2, v[3:6], s[2:3] offset:24 th:TH_ATOMIC_RETURN scope:SCOPE_SYS
	s_wait_loadcnt 0x0
	global_inv scope:SCOPE_SYS
	v_cmpx_ne_u64_e64 v[8:9], v[5:6]
	s_cbranch_execz .LBB6_544
; %bb.541:
	s_mov_b32 s5, 0
.LBB6_542:                              ; =>This Inner Loop Header: Depth=1
	s_sleep 1
	s_clause 0x1
	global_load_b64 v[3:4], v2, s[2:3] offset:40
	global_load_b64 v[10:11], v2, s[2:3]
	v_dual_mov_b32 v5, v8 :: v_dual_mov_b32 v6, v9
	s_wait_loadcnt 0x1
	s_delay_alu instid0(VALU_DEP_1) | instskip(NEXT) | instid1(VALU_DEP_2)
	v_and_b32_e32 v3, v3, v5
	v_and_b32_e32 v4, v4, v6
	s_wait_loadcnt 0x0
	s_delay_alu instid0(VALU_DEP_2) | instskip(NEXT) | instid1(VALU_DEP_1)
	v_mad_co_u64_u32 v[7:8], null, v3, 24, v[10:11]
	v_mov_b32_e32 v3, v8
	s_delay_alu instid0(VALU_DEP_1) | instskip(NEXT) | instid1(VALU_DEP_1)
	v_mad_co_u64_u32 v[3:4], null, v4, 24, v[3:4]
	v_mov_b32_e32 v8, v3
	global_load_b64 v[3:4], v[7:8], off scope:SCOPE_SYS
	s_wait_loadcnt 0x0
	global_atomic_cmpswap_b64 v[8:9], v2, v[3:6], s[2:3] offset:24 th:TH_ATOMIC_RETURN scope:SCOPE_SYS
	s_wait_loadcnt 0x0
	global_inv scope:SCOPE_SYS
	v_cmp_eq_u64_e32 vcc_lo, v[8:9], v[5:6]
	s_wait_alu 0xfffe
	s_or_b32 s5, vcc_lo, s5
	s_wait_alu 0xfffe
	s_and_not1_b32 exec_lo, exec_lo, s5
	s_cbranch_execnz .LBB6_542
; %bb.543:
	s_or_b32 exec_lo, exec_lo, s5
.LBB6_544:
	s_wait_alu 0xfffe
	s_or_b32 exec_lo, exec_lo, s4
.LBB6_545:
	s_wait_alu 0xfffe
	s_or_b32 exec_lo, exec_lo, s1
	v_readfirstlane_b32 s5, v9
	v_mov_b32_e32 v2, 0
	v_readfirstlane_b32 s4, v8
	s_mov_b32 s1, exec_lo
	s_clause 0x1
	global_load_b64 v[10:11], v2, s[2:3] offset:40
	global_load_b128 v[4:7], v2, s[2:3]
	s_wait_loadcnt 0x1
	s_wait_alu 0xf1ff
	v_and_b32_e32 v11, s5, v11
	v_and_b32_e32 v10, s4, v10
	s_delay_alu instid0(VALU_DEP_2) | instskip(NEXT) | instid1(VALU_DEP_2)
	v_mul_lo_u32 v3, 24, v11
	v_mul_lo_u32 v8, 0, v10
	v_mul_hi_u32 v9, 24, v10
	v_mul_lo_u32 v12, 24, v10
	s_delay_alu instid0(VALU_DEP_3) | instskip(SKIP_1) | instid1(VALU_DEP_2)
	v_add_nc_u32_e32 v3, v3, v8
	s_wait_loadcnt 0x0
	v_add_co_u32 v8, vcc_lo, v4, v12
	s_delay_alu instid0(VALU_DEP_2) | instskip(SKIP_1) | instid1(VALU_DEP_1)
	v_add_nc_u32_e32 v3, v3, v9
	s_wait_alu 0xfffd
	v_add_co_ci_u32_e64 v9, null, v5, v3, vcc_lo
	s_and_saveexec_b32 s6, s0
	s_cbranch_execz .LBB6_547
; %bb.546:
	s_wait_alu 0xfffe
	v_dual_mov_b32 v12, s1 :: v_dual_mov_b32 v13, v2
	v_dual_mov_b32 v14, 2 :: v_dual_mov_b32 v15, 1
	global_store_b128 v[8:9], v[12:15], off offset:8
.LBB6_547:
	s_wait_alu 0xfffe
	s_or_b32 exec_lo, exec_lo, s6
	v_lshlrev_b64_e32 v[10:11], 12, v[10:11]
	s_mov_b32 s8, 0
	v_and_or_b32 v0, 0xffffff1d, v0, 34
	s_wait_alu 0xfffe
	s_mov_b32 s11, s8
	s_mov_b32 s9, s8
	;; [unrolled: 1-line block ×3, first 2 shown]
	v_add_co_u32 v6, vcc_lo, v6, v10
	s_wait_alu 0xfffd
	v_add_co_ci_u32_e64 v7, null, v7, v11, vcc_lo
	v_mov_b32_e32 v3, v2
	s_delay_alu instid0(VALU_DEP_3)
	v_readfirstlane_b32 s6, v6
	s_wait_alu 0xfffe
	v_dual_mov_b32 v13, s11 :: v_dual_mov_b32 v10, s8
	v_readfirstlane_b32 s7, v7
	v_dual_mov_b32 v12, s10 :: v_dual_mov_b32 v11, s9
	s_clause 0x3
	global_store_b128 v30, v[0:3], s[6:7]
	global_store_b128 v30, v[10:13], s[6:7] offset:16
	global_store_b128 v30, v[10:13], s[6:7] offset:32
	;; [unrolled: 1-line block ×3, first 2 shown]
	s_and_saveexec_b32 s1, s0
	s_cbranch_execz .LBB6_555
; %bb.548:
	v_mov_b32_e32 v6, 0
	s_mov_b32 s6, exec_lo
	s_clause 0x1
	global_load_b64 v[12:13], v6, s[2:3] offset:32 scope:SCOPE_SYS
	global_load_b64 v[0:1], v6, s[2:3] offset:40
	v_dual_mov_b32 v11, s5 :: v_dual_mov_b32 v10, s4
	s_wait_loadcnt 0x0
	v_and_b32_e32 v1, s5, v1
	v_and_b32_e32 v0, s4, v0
	s_delay_alu instid0(VALU_DEP_2) | instskip(NEXT) | instid1(VALU_DEP_2)
	v_mul_lo_u32 v1, 24, v1
	v_mul_lo_u32 v2, 0, v0
	v_mul_hi_u32 v3, 24, v0
	v_mul_lo_u32 v0, 24, v0
	s_delay_alu instid0(VALU_DEP_3) | instskip(NEXT) | instid1(VALU_DEP_2)
	v_add_nc_u32_e32 v1, v1, v2
	v_add_co_u32 v4, vcc_lo, v4, v0
	s_delay_alu instid0(VALU_DEP_2) | instskip(SKIP_1) | instid1(VALU_DEP_1)
	v_add_nc_u32_e32 v1, v1, v3
	s_wait_alu 0xfffd
	v_add_co_ci_u32_e64 v5, null, v5, v1, vcc_lo
	global_store_b64 v[4:5], v[12:13], off
	global_wb scope:SCOPE_SYS
	s_wait_storecnt 0x0
	global_atomic_cmpswap_b64 v[2:3], v6, v[10:13], s[2:3] offset:32 th:TH_ATOMIC_RETURN scope:SCOPE_SYS
	s_wait_loadcnt 0x0
	v_cmpx_ne_u64_e64 v[2:3], v[12:13]
	s_cbranch_execz .LBB6_551
; %bb.549:
	s_mov_b32 s7, 0
.LBB6_550:                              ; =>This Inner Loop Header: Depth=1
	v_dual_mov_b32 v0, s4 :: v_dual_mov_b32 v1, s5
	s_sleep 1
	global_store_b64 v[4:5], v[2:3], off
	global_wb scope:SCOPE_SYS
	s_wait_storecnt 0x0
	global_atomic_cmpswap_b64 v[0:1], v6, v[0:3], s[2:3] offset:32 th:TH_ATOMIC_RETURN scope:SCOPE_SYS
	s_wait_loadcnt 0x0
	v_cmp_eq_u64_e32 vcc_lo, v[0:1], v[2:3]
	v_dual_mov_b32 v3, v1 :: v_dual_mov_b32 v2, v0
	s_wait_alu 0xfffe
	s_or_b32 s7, vcc_lo, s7
	s_wait_alu 0xfffe
	s_and_not1_b32 exec_lo, exec_lo, s7
	s_cbranch_execnz .LBB6_550
.LBB6_551:
	s_wait_alu 0xfffe
	s_or_b32 exec_lo, exec_lo, s6
	v_mov_b32_e32 v3, 0
	s_mov_b32 s7, exec_lo
	s_mov_b32 s6, exec_lo
	s_wait_alu 0xfffe
	v_mbcnt_lo_u32_b32 v2, s7, 0
	global_load_b64 v[0:1], v3, s[2:3] offset:16
	v_cmpx_eq_u32_e32 0, v2
	s_cbranch_execz .LBB6_553
; %bb.552:
	s_bcnt1_i32_b32 s7, s7
	s_wait_alu 0xfffe
	v_mov_b32_e32 v2, s7
	global_wb scope:SCOPE_SYS
	s_wait_loadcnt 0x0
	s_wait_storecnt 0x0
	global_atomic_add_u64 v[0:1], v[2:3], off offset:8 scope:SCOPE_SYS
.LBB6_553:
	s_or_b32 exec_lo, exec_lo, s6
	s_wait_loadcnt 0x0
	global_load_b64 v[2:3], v[0:1], off offset:16
	s_wait_loadcnt 0x0
	v_cmp_eq_u64_e32 vcc_lo, 0, v[2:3]
	s_cbranch_vccnz .LBB6_555
; %bb.554:
	global_load_b32 v0, v[0:1], off offset:24
	v_mov_b32_e32 v1, 0
	s_wait_loadcnt 0x0
	v_readfirstlane_b32 s6, v0
	global_wb scope:SCOPE_SYS
	s_wait_storecnt 0x0
	global_store_b64 v[2:3], v[0:1], off scope:SCOPE_SYS
	s_and_b32 m0, s6, 0xffffff
	s_sendmsg sendmsg(MSG_INTERRUPT)
.LBB6_555:
	s_wait_alu 0xfffe
	s_or_b32 exec_lo, exec_lo, s1
	s_branch .LBB6_559
.LBB6_556:                              ;   in Loop: Header=BB6_559 Depth=1
	s_wait_alu 0xfffe
	s_or_b32 exec_lo, exec_lo, s1
	s_delay_alu instid0(VALU_DEP_1)
	v_readfirstlane_b32 s1, v0
	s_cmp_eq_u32 s1, 0
	s_cbranch_scc1 .LBB6_558
; %bb.557:                              ;   in Loop: Header=BB6_559 Depth=1
	s_sleep 1
	s_cbranch_execnz .LBB6_559
	s_branch .LBB6_561
.LBB6_558:
	s_branch .LBB6_561
.LBB6_559:                              ; =>This Inner Loop Header: Depth=1
	v_mov_b32_e32 v0, 1
	s_and_saveexec_b32 s1, s0
	s_cbranch_execz .LBB6_556
; %bb.560:                              ;   in Loop: Header=BB6_559 Depth=1
	global_load_b32 v0, v[8:9], off offset:20 scope:SCOPE_SYS
	s_wait_loadcnt 0x0
	global_inv scope:SCOPE_SYS
	v_and_b32_e32 v0, 1, v0
	s_branch .LBB6_556
.LBB6_561:
	s_and_saveexec_b32 s6, s0
	s_cbranch_execz .LBB6_565
; %bb.562:
	v_mov_b32_e32 v6, 0
	s_clause 0x2
	global_load_b64 v[0:1], v6, s[2:3] offset:40
	global_load_b64 v[9:10], v6, s[2:3] offset:24 scope:SCOPE_SYS
	global_load_b64 v[2:3], v6, s[2:3]
	s_wait_loadcnt 0x2
	v_readfirstlane_b32 s8, v0
	v_readfirstlane_b32 s9, v1
	s_add_nc_u64 s[0:1], s[8:9], 1
	s_wait_alu 0xfffe
	s_add_nc_u64 s[4:5], s[0:1], s[4:5]
	s_wait_alu 0xfffe
	s_cmp_eq_u64 s[4:5], 0
	s_cselect_b32 s1, s1, s5
	s_cselect_b32 s0, s0, s4
	s_wait_alu 0xfffe
	v_mov_b32_e32 v8, s1
	s_and_b64 s[4:5], s[0:1], s[8:9]
	v_mov_b32_e32 v7, s0
	s_wait_alu 0xfffe
	s_mul_u64 s[4:5], s[4:5], 24
	s_wait_loadcnt 0x0
	s_wait_alu 0xfffe
	v_add_co_u32 v4, vcc_lo, v2, s4
	s_wait_alu 0xfffd
	v_add_co_ci_u32_e64 v5, null, s5, v3, vcc_lo
	global_store_b64 v[4:5], v[9:10], off
	global_wb scope:SCOPE_SYS
	s_wait_storecnt 0x0
	global_atomic_cmpswap_b64 v[2:3], v6, v[7:10], s[2:3] offset:24 th:TH_ATOMIC_RETURN scope:SCOPE_SYS
	s_wait_loadcnt 0x0
	v_cmp_ne_u64_e32 vcc_lo, v[2:3], v[9:10]
	s_and_b32 exec_lo, exec_lo, vcc_lo
	s_cbranch_execz .LBB6_565
; %bb.563:
	s_mov_b32 s4, 0
.LBB6_564:                              ; =>This Inner Loop Header: Depth=1
	v_dual_mov_b32 v0, s0 :: v_dual_mov_b32 v1, s1
	s_sleep 1
	global_store_b64 v[4:5], v[2:3], off
	global_wb scope:SCOPE_SYS
	s_wait_storecnt 0x0
	global_atomic_cmpswap_b64 v[0:1], v6, v[0:3], s[2:3] offset:24 th:TH_ATOMIC_RETURN scope:SCOPE_SYS
	s_wait_loadcnt 0x0
	v_cmp_eq_u64_e32 vcc_lo, v[0:1], v[2:3]
	v_dual_mov_b32 v3, v1 :: v_dual_mov_b32 v2, v0
	s_wait_alu 0xfffe
	s_or_b32 s4, vcc_lo, s4
	s_wait_alu 0xfffe
	s_and_not1_b32 exec_lo, exec_lo, s4
	s_cbranch_execnz .LBB6_564
.LBB6_565:
	s_wait_alu 0xfffe
	s_or_b32 exec_lo, exec_lo, s6
.LBB6_566:
	s_getpc_b64 s[0:1]
	s_wait_alu 0xfffe
	s_sext_i32_i16 s1, s1
	s_add_co_u32 s0, s0, .str.29@rel32@lo+12
	s_wait_alu 0xfffe
	s_add_co_ci_u32 s1, s1, .str.29@rel32@hi+24
	s_getpc_b64 s[2:3]
	s_wait_alu 0xfffe
	s_sext_i32_i16 s3, s3
	s_add_co_u32 s2, s2, .str.19@rel32@lo+12
	s_wait_alu 0xfffe
	s_add_co_ci_u32 s3, s3, .str.19@rel32@hi+24
	s_getpc_b64 s[4:5]
	s_wait_alu 0xfffe
	s_sext_i32_i16 s5, s5
	s_add_co_u32 s4, s4, __PRETTY_FUNCTION__._ZN7VecsMemIjLi8192EE5fetchEi@rel32@lo+12
	s_wait_alu 0xfffe
	s_add_co_ci_u32 s5, s5, __PRETTY_FUNCTION__._ZN7VecsMemIjLi8192EE5fetchEi@rel32@hi+24
	s_wait_loadcnt 0x0
	v_dual_mov_b32 v0, s0 :: v_dual_mov_b32 v1, s1
	v_dual_mov_b32 v2, s2 :: v_dual_mov_b32 v3, s3
	;; [unrolled: 1-line block ×3, first 2 shown]
	s_wait_alu 0xfffe
	v_mov_b32_e32 v6, s5
	s_getpc_b64 s[6:7]
	s_wait_alu 0xfffe
	s_sext_i32_i16 s7, s7
	s_add_co_u32 s6, s6, __assert_fail@rel32@lo+12
	s_wait_alu 0xfffe
	s_add_co_ci_u32 s7, s7, __assert_fail@rel32@hi+24
	s_mov_b64 s[8:9], s[52:53]
	s_wait_alu 0xfffe
	s_swappc_b64 s[30:31], s[6:7]
	s_or_b32 s0, s19, exec_lo
.LBB6_567:
	s_or_b32 exec_lo, exec_lo, s17
	s_delay_alu instid0(SALU_CYCLE_1)
	s_and_not1_b32 s1, s19, exec_lo
	s_wait_alu 0xfffe
	s_and_b32 s0, s0, exec_lo
	s_wait_alu 0xfffe
	s_or_b32 s17, s1, s0
	s_or_not1_b32 s0, s24, exec_lo
.LBB6_568:
	s_wait_alu 0xfffe
	s_or_b32 exec_lo, exec_lo, s23
	s_mov_b32 s1, 0
                                        ; implicit-def: $vgpr41
	s_and_saveexec_b32 s42, s0
	s_cbranch_execz .LBB6_1813
; %bb.569:
	v_dual_mov_b32 v1, 0 :: v_dual_mov_b32 v6, 0
	s_mov_b32 s5, 0
	s_mov_b32 s9, 0
	s_wait_alu 0xfffe
	s_mov_b32 s6, s5
	v_mov_b32_e32 v80, v1
	scratch_store_b64 off, v[69:70], s33 offset:112
                                        ; implicit-def: $sgpr8
	s_branch .LBB6_571
.LBB6_570:                              ;   in Loop: Header=BB6_571 Depth=1
	s_wait_alu 0xfffe
	s_or_b32 exec_lo, exec_lo, s3
	s_xor_b32 s0, s2, -1
	s_and_b32 s1, exec_lo, s1
	s_wait_alu 0xfffe
	s_or_b32 s9, s1, s9
	s_and_not1_b32 s1, s8, exec_lo
	s_and_b32 s0, s0, exec_lo
	s_wait_alu 0xfffe
	s_or_b32 s8, s1, s0
	s_and_not1_b32 exec_lo, exec_lo, s9
	s_cbranch_execz .LBB6_611
.LBB6_571:                              ; =>This Loop Header: Depth=1
                                        ;     Child Loop BB6_574 Depth 2
                                        ;     Child Loop BB6_579 Depth 2
                                        ;       Child Loop BB6_583 Depth 3
                                        ;     Child Loop BB6_592 Depth 2
                                        ;       Child Loop BB6_596 Depth 3
	s_mov_b32 s7, s5
	s_wait_alu 0xfffe
	s_lshl_b64 s[0:1], s[6:7], 2
	s_mov_b32 s7, exec_lo
	s_wait_alu 0xfffe
	v_add_co_u32 v2, vcc_lo, v64, s0
	s_wait_alu 0xfffd
	v_add_co_ci_u32_e64 v3, null, s1, v65, vcc_lo
	s_mov_b32 s0, -1
	flat_load_b32 v0, v[2:3]
	s_wait_loadcnt_dscnt 0x0
	v_cmpx_lt_i32_e32 -1, v0
	s_cbranch_execz .LBB6_609
; %bb.572:                              ;   in Loop: Header=BB6_571 Depth=1
	v_dual_mov_b32 v4, v66 :: v_dual_mov_b32 v5, v67
	s_mov_b32 s1, 0
	s_mov_b32 s2, 0
                                        ; implicit-def: $sgpr3
	s_branch .LBB6_574
.LBB6_573:                              ;   in Loop: Header=BB6_574 Depth=2
	s_wait_alu 0xfffe
	s_or_b32 exec_lo, exec_lo, s4
	s_delay_alu instid0(SALU_CYCLE_1)
	s_and_b32 s0, exec_lo, s3
	s_wait_alu 0xfffe
	s_or_b32 s1, s0, s1
	s_wait_alu 0xfffe
	s_and_not1_b32 exec_lo, exec_lo, s1
	s_cbranch_execz .LBB6_576
.LBB6_574:                              ;   Parent Loop BB6_571 Depth=1
                                        ; =>  This Inner Loop Header: Depth=2
	flat_load_b32 v8, v[4:5]
	s_or_b32 s3, s3, exec_lo
	s_wait_loadcnt_dscnt 0x0
	v_and_b32_e32 v7, v8, v0
	s_delay_alu instid0(VALU_DEP_1)
	v_cmp_ne_u32_e32 vcc_lo, v7, v8
	s_wait_alu 0xfffe
	v_mov_b32_e32 v7, s2
	s_and_saveexec_b32 s4, vcc_lo
	s_cbranch_execz .LBB6_573
; %bb.575:                              ;   in Loop: Header=BB6_574 Depth=2
	s_add_co_i32 s2, s2, 1
	v_add_co_u32 v4, s0, v4, 4
	s_wait_alu 0xfffe
	v_cmp_eq_u32_e32 vcc_lo, s2, v68
	s_wait_alu 0xf1ff
	v_add_co_ci_u32_e64 v5, null, 0, v5, s0
	v_mov_b32_e32 v7, v68
	s_and_not1_b32 s0, s3, exec_lo
	s_and_b32 s3, vcc_lo, exec_lo
	s_wait_alu 0xfffe
	s_or_b32 s3, s0, s3
	s_branch .LBB6_573
.LBB6_576:                              ;   in Loop: Header=BB6_571 Depth=1
	s_or_b32 exec_lo, exec_lo, s1
	s_mov_b32 s0, -1
	s_mov_b32 s10, exec_lo
	v_cmpx_ne_u32_e64 v7, v68
	s_cbranch_execz .LBB6_608
; %bb.577:                              ;   in Loop: Header=BB6_571 Depth=1
	v_bfi_b32 v8, v8, 0, v0
	s_mov_b32 s3, 0
	v_cmp_lt_i32_e32 vcc_lo, 0, v56
	s_wait_alu 0xfffe
	s_mov_b32 s4, s3
	s_branch .LBB6_579
.LBB6_578:                              ;   in Loop: Header=BB6_579 Depth=2
	s_wait_alu 0xfffe
	s_or_b32 exec_lo, exec_lo, s2
	s_delay_alu instid0(SALU_CYCLE_1)
	s_and_b32 s0, exec_lo, s11
	s_wait_alu 0xfffe
	s_or_b32 s3, s0, s3
	s_wait_alu 0xfffe
	s_and_not1_b32 exec_lo, exec_lo, s3
	s_cbranch_execz .LBB6_589
.LBB6_579:                              ;   Parent Loop BB6_571 Depth=1
                                        ; =>  This Loop Header: Depth=2
                                        ;       Child Loop BB6_583 Depth 3
	s_mov_b32 s11, -1
	s_mov_b32 s1, -1
	s_mov_b32 s12, exec_lo
	s_wait_alu 0xfffe
	v_cmpx_ne_u32_e64 s4, v7
	s_cbranch_execz .LBB6_587
; %bb.580:                              ;   in Loop: Header=BB6_579 Depth=2
	v_mov_b32_e32 v11, 0
	s_and_saveexec_b32 s13, vcc_lo
	s_cbranch_execz .LBB6_586
; %bb.581:                              ;   in Loop: Header=BB6_579 Depth=2
	s_lshl_b64 s[0:1], s[4:5], 2
	s_mov_b32 s14, 0
	s_wait_alu 0xfffe
	v_add_co_u32 v4, s0, v66, s0
	s_wait_alu 0xf1ff
	v_add_co_ci_u32_e64 v5, null, s1, v67, s0
	s_mov_b32 s15, 0
                                        ; implicit-def: $sgpr16
	flat_load_b32 v9, v[4:5]
	v_dual_mov_b32 v4, v64 :: v_dual_mov_b32 v5, v65
	s_wait_loadcnt_dscnt 0x0
	v_not_b32_e32 v10, v9
	s_branch .LBB6_583
.LBB6_582:                              ;   in Loop: Header=BB6_583 Depth=3
	s_wait_alu 0xfffe
	s_or_b32 exec_lo, exec_lo, s2
	s_delay_alu instid0(SALU_CYCLE_1)
	s_and_b32 s0, exec_lo, s16
	s_wait_alu 0xfffe
	s_or_b32 s14, s0, s14
	s_wait_alu 0xfffe
	s_and_not1_b32 exec_lo, exec_lo, s14
	s_cbranch_execz .LBB6_585
.LBB6_583:                              ;   Parent Loop BB6_571 Depth=1
                                        ;     Parent Loop BB6_579 Depth=2
                                        ; =>    This Inner Loop Header: Depth=3
	flat_load_b32 v6, v[4:5]
	s_or_b32 s16, s16, exec_lo
	s_wait_loadcnt_dscnt 0x0
	v_and_b32_e32 v11, v6, v9
	v_and_b32_e32 v12, v6, v10
	v_cmp_gt_i32_e64 s2, 0, v6
	s_delay_alu instid0(VALU_DEP_3)
	v_cmp_ne_u32_e64 s0, v11, v9
	s_wait_alu 0xfffe
	v_mov_b32_e32 v11, s15
	v_cmp_ne_u32_e64 s1, v8, v12
	s_or_b32 s0, s0, s1
	s_wait_alu 0xfffe
	s_or_b32 s0, s0, s2
	s_wait_alu 0xfffe
	s_and_saveexec_b32 s2, s0
	s_cbranch_execz .LBB6_582
; %bb.584:                              ;   in Loop: Header=BB6_583 Depth=3
	s_add_co_i32 s15, s15, 1
	v_add_co_u32 v4, s1, v4, 4
	s_wait_alu 0xfffe
	v_cmp_eq_u32_e64 s0, s15, v56
	s_wait_alu 0xf1ff
	v_add_co_ci_u32_e64 v5, null, 0, v5, s1
	v_mov_b32_e32 v11, v56
	s_and_not1_b32 s1, s16, exec_lo
	s_and_b32 s0, s0, exec_lo
	s_wait_alu 0xfffe
	s_or_b32 s16, s1, s0
	s_branch .LBB6_582
.LBB6_585:                              ;   in Loop: Header=BB6_579 Depth=2
	s_or_b32 exec_lo, exec_lo, s14
.LBB6_586:                              ;   in Loop: Header=BB6_579 Depth=2
	s_wait_alu 0xfffe
	s_or_b32 exec_lo, exec_lo, s13
	v_cmp_ne_u32_e64 s0, v11, v56
	s_or_not1_b32 s1, s0, exec_lo
.LBB6_587:                              ;   in Loop: Header=BB6_579 Depth=2
	s_or_b32 exec_lo, exec_lo, s12
	v_mov_b32_e32 v4, s4
	s_wait_alu 0xfffe
	s_and_saveexec_b32 s2, s1
	s_cbranch_execz .LBB6_578
; %bb.588:                              ;   in Loop: Header=BB6_579 Depth=2
	s_add_co_i32 s4, s4, 1
	v_mov_b32_e32 v4, v68
	s_wait_alu 0xfffe
	v_cmp_eq_u32_e64 s0, s4, v68
	s_or_not1_b32 s11, s0, exec_lo
	s_branch .LBB6_578
.LBB6_589:                              ;   in Loop: Header=BB6_571 Depth=1
	s_or_b32 exec_lo, exec_lo, s3
	s_mov_b32 s0, -1
	s_mov_b32 s11, exec_lo
	v_cmpx_eq_u32_e64 v4, v68
	s_cbranch_execz .LBB6_607
; %bb.590:                              ;   in Loop: Header=BB6_571 Depth=1
	v_ashrrev_i32_e32 v81, 31, v80
	v_add_nc_u32_e32 v9, 1, v80
	s_mov_b32 s12, 0
	v_or_b32_e32 v0, 0x80000000, v0
	s_wait_alu 0xfffe
	s_mov_b32 s4, s12
	v_lshlrev_b64_e32 v[4:5], 2, v[80:81]
                                        ; implicit-def: $sgpr13
	s_delay_alu instid0(VALU_DEP_1) | instskip(SKIP_1) | instid1(VALU_DEP_2)
	v_add_co_u32 v4, vcc_lo, v69, v4
	s_wait_alu 0xfffd
	v_add_co_ci_u32_e64 v5, null, v70, v5, vcc_lo
	scratch_store_b32 off, v9, s33 offset:108
	flat_store_b32 v[4:5], v8
	flat_store_b32 v[2:3], v0
	s_branch .LBB6_592
.LBB6_591:                              ;   in Loop: Header=BB6_592 Depth=2
	s_wait_alu 0xfffe
	s_or_b32 exec_lo, exec_lo, s2
	s_xor_b32 s0, s1, -1
	s_and_b32 s1, exec_lo, s14
	s_wait_alu 0xfffe
	s_or_b32 s12, s1, s12
	s_and_not1_b32 s1, s13, exec_lo
	s_and_b32 s0, s0, exec_lo
	s_wait_alu 0xfffe
	s_or_b32 s13, s1, s0
	s_and_not1_b32 exec_lo, exec_lo, s12
	s_cbranch_execz .LBB6_604
.LBB6_592:                              ;   Parent Loop BB6_571 Depth=1
                                        ; =>  This Loop Header: Depth=2
                                        ;       Child Loop BB6_596 Depth 3
	s_mov_b32 s14, -1
	s_mov_b32 s0, -1
	s_mov_b32 s15, exec_lo
	s_wait_alu 0xfffe
	v_cmpx_ne_u32_e64 s4, v7
	s_cbranch_execz .LBB6_602
; %bb.593:                              ;   in Loop: Header=BB6_592 Depth=2
	flat_load_b32 v0, v[54:55] offset:4
	v_mov_b32_e32 v4, 0
	v_mov_b32_e32 v5, 0
	s_mov_b32 s0, 0
	s_mov_b32 s16, exec_lo
	s_wait_loadcnt_dscnt 0x0
	v_cmpx_lt_i32_e32 0, v0
	s_cbranch_execz .LBB6_599
; %bb.594:                              ;   in Loop: Header=BB6_592 Depth=2
	s_lshl_b64 s[0:1], s[4:5], 2
	s_mov_b64 s[2:3], 0
	s_wait_alu 0xfffe
	v_add_co_u32 v2, vcc_lo, v66, s0
	s_wait_alu 0xfffd
	v_add_co_ci_u32_e64 v3, null, s1, v67, vcc_lo
	s_mov_b32 s23, 0
                                        ; implicit-def: $sgpr24
                                        ; implicit-def: $sgpr44
                                        ; implicit-def: $sgpr43
	flat_load_b32 v10, v[2:3]
	v_dual_mov_b32 v2, v64 :: v_dual_mov_b32 v3, v65
	s_wait_loadcnt_dscnt 0x0
	v_not_b32_e32 v11, v10
	s_branch .LBB6_596
.LBB6_595:                              ;   in Loop: Header=BB6_596 Depth=3
	s_wait_alu 0xfffe
	s_or_b32 exec_lo, exec_lo, s1
	s_delay_alu instid0(SALU_CYCLE_1)
	s_and_b32 s0, exec_lo, s44
	s_wait_alu 0xfffe
	s_or_b32 s23, s0, s23
	s_and_not1_b32 s0, s24, exec_lo
	s_and_b32 s1, s43, exec_lo
	s_wait_alu 0xfffe
	s_or_b32 s24, s0, s1
	s_and_not1_b32 exec_lo, exec_lo, s23
	s_cbranch_execz .LBB6_598
.LBB6_596:                              ;   Parent Loop BB6_571 Depth=1
                                        ;     Parent Loop BB6_592 Depth=2
                                        ; =>    This Inner Loop Header: Depth=3
	flat_load_b32 v6, v[2:3]
	s_or_b32 s43, s43, exec_lo
	s_or_b32 s44, s44, exec_lo
	s_wait_loadcnt_dscnt 0x0
	v_and_b32_e32 v4, v6, v10
	v_and_b32_e32 v5, v6, v11
	v_cmp_gt_i32_e64 s1, 0, v6
	s_delay_alu instid0(VALU_DEP_3) | instskip(NEXT) | instid1(VALU_DEP_3)
	v_cmp_ne_u32_e32 vcc_lo, v4, v10
	v_cmp_ne_u32_e64 s0, v8, v5
	v_dual_mov_b32 v5, s3 :: v_dual_mov_b32 v4, s2
	s_or_b32 s0, vcc_lo, s0
	s_wait_alu 0xfffe
	s_or_b32 s0, s0, s1
	s_wait_alu 0xfffe
	s_and_saveexec_b32 s1, s0
	s_cbranch_execz .LBB6_595
; %bb.597:                              ;   in Loop: Header=BB6_596 Depth=3
	s_add_nc_u64 s[2:3], s[2:3], 1
	v_add_co_u32 v2, s0, v2, 4
	s_wait_alu 0xfffe
	v_cmp_eq_u32_e32 vcc_lo, s2, v0
	s_wait_alu 0xf1ff
	v_add_co_ci_u32_e64 v3, null, 0, v3, s0
	v_dual_mov_b32 v5, v1 :: v_dual_mov_b32 v4, v0
	s_and_not1_b32 s0, s44, exec_lo
	s_and_b32 s44, vcc_lo, exec_lo
	s_and_not1_b32 s43, s43, exec_lo
	s_wait_alu 0xfffe
	s_or_b32 s44, s0, s44
	s_branch .LBB6_595
.LBB6_598:                              ;   in Loop: Header=BB6_592 Depth=2
	s_or_b32 exec_lo, exec_lo, s23
	s_wait_alu 0xfffe
	s_and_b32 s0, s24, exec_lo
.LBB6_599:                              ;   in Loop: Header=BB6_592 Depth=2
	s_wait_alu 0xfffe
	s_or_b32 exec_lo, exec_lo, s16
	s_mov_b32 s1, 0
	s_and_saveexec_b32 s2, s0
	s_cbranch_execz .LBB6_601
; %bb.600:                              ;   in Loop: Header=BB6_592 Depth=2
	v_lshlrev_b64_e32 v[2:3], 2, v[4:5]
	v_or_b32_e32 v0, 0x80000000, v6
	s_mov_b32 s1, exec_lo
	s_delay_alu instid0(VALU_DEP_2) | instskip(SKIP_1) | instid1(VALU_DEP_3)
	v_add_co_u32 v2, vcc_lo, v64, v2
	s_wait_alu 0xfffd
	v_add_co_ci_u32_e64 v3, null, v65, v3, vcc_lo
	flat_store_b32 v[2:3], v0
.LBB6_601:                              ;   in Loop: Header=BB6_592 Depth=2
	s_wait_alu 0xfffe
	s_or_b32 exec_lo, exec_lo, s2
	s_delay_alu instid0(SALU_CYCLE_1)
	s_or_not1_b32 s0, s1, exec_lo
.LBB6_602:                              ;   in Loop: Header=BB6_592 Depth=2
	s_or_b32 exec_lo, exec_lo, s15
	s_mov_b32 s1, -1
	s_wait_alu 0xfffe
	s_and_saveexec_b32 s2, s0
	s_cbranch_execz .LBB6_591
; %bb.603:                              ;   in Loop: Header=BB6_592 Depth=2
	s_add_co_i32 s4, s4, 1
	s_xor_b32 s1, exec_lo, -1
	s_wait_alu 0xfffe
	v_cmp_eq_u32_e32 vcc_lo, s4, v68
	s_or_not1_b32 s14, vcc_lo, exec_lo
	s_branch .LBB6_591
.LBB6_604:                              ;   in Loop: Header=BB6_571 Depth=1
	s_or_b32 exec_lo, exec_lo, s12
	s_mov_b32 s0, 0
                                        ; implicit-def: $vgpr56
	s_wait_alu 0xfffe
	s_and_saveexec_b32 s1, s13
	s_wait_alu 0xfffe
	s_xor_b32 s1, exec_lo, s1
	s_cbranch_execz .LBB6_606
; %bb.605:                              ;   in Loop: Header=BB6_571 Depth=1
	flat_load_b32 v56, v[54:55] offset:4
	s_mov_b32 s0, exec_lo
.LBB6_606:                              ;   in Loop: Header=BB6_571 Depth=1
	s_wait_alu 0xfffe
	s_or_b32 exec_lo, exec_lo, s1
	v_mov_b32_e32 v80, v9
	s_or_not1_b32 s0, s0, exec_lo
.LBB6_607:                              ;   in Loop: Header=BB6_571 Depth=1
	s_wait_alu 0xfffe
	s_or_b32 exec_lo, exec_lo, s11
	s_delay_alu instid0(SALU_CYCLE_1)
	s_or_not1_b32 s0, s0, exec_lo
.LBB6_608:                              ;   in Loop: Header=BB6_571 Depth=1
	s_wait_alu 0xfffe
	s_or_b32 exec_lo, exec_lo, s10
	s_delay_alu instid0(SALU_CYCLE_1)
	s_or_not1_b32 s0, s0, exec_lo
.LBB6_609:                              ;   in Loop: Header=BB6_571 Depth=1
	s_or_b32 exec_lo, exec_lo, s7
	s_mov_b32 s1, -1
	s_mov_b32 s2, -1
	s_wait_alu 0xfffe
	s_and_saveexec_b32 s3, s0
	s_cbranch_execz .LBB6_570
; %bb.610:                              ;   in Loop: Header=BB6_571 Depth=1
	s_add_co_i32 s6, s6, 1
	s_xor_b32 s2, exec_lo, -1
	s_wait_loadcnt_dscnt 0x0
	s_wait_alu 0xfffe
	v_cmp_ge_i32_e32 vcc_lo, s6, v56
	s_or_not1_b32 s1, vcc_lo, exec_lo
	s_branch .LBB6_570
.LBB6_611:
	s_or_b32 exec_lo, exec_lo, s9
	s_mov_b32 s23, 0
	s_mov_b32 s24, s17
                                        ; implicit-def: $vgpr41
	s_wait_alu 0xfffe
	s_and_saveexec_b32 s0, s8
	s_wait_alu 0xfffe
	s_xor_b32 s43, exec_lo, s0
	s_cbranch_execz .LBB6_1810
; %bb.612:
	v_mul_lo_u32 v71, v80, v68
	v_dual_mov_b32 v0, 0 :: v_dual_mov_b32 v67, 0
	v_mov_b32_e32 v68, 0
	s_mov_b32 s0, -1
	s_mov_b32 s23, s17
	s_mov_b32 s24, exec_lo
	scratch_store_b32 off, v0, s33 offset:140
	s_wait_loadcnt_dscnt 0x0
	v_sub_nc_u32_e32 v66, v56, v71
	s_delay_alu instid0(VALU_DEP_1)
	v_cmpx_lt_i32_e32 0, v66
	s_cbranch_execz .LBB6_759
; %bb.613:
	flat_load_b32 v0, v[44:45]
	s_mov_b32 s44, 0
	s_mov_b32 s0, exec_lo
	v_mov_b32_e32 v67, 0
	v_mov_b32_e32 v68, 0
	s_wait_loadcnt_dscnt 0x0
	v_add_nc_u32_e32 v0, v0, v66
	s_delay_alu instid0(VALU_DEP_1)
	v_cmpx_gt_i32_e32 0x2001, v0
	s_wait_alu 0xfffe
	s_xor_b32 s0, exec_lo, s0
	s_cbranch_execz .LBB6_615
; %bb.614:
	v_ashrrev_i32_e32 v1, 31, v0
	v_mov_b32_e32 v67, 0
	s_mov_b32 s44, exec_lo
	flat_store_b32 v[44:45], v0
	v_lshlrev_b64_e32 v[1:2], 2, v[0:1]
	v_lshlrev_b64_e32 v[3:4], 2, v[66:67]
	s_delay_alu instid0(VALU_DEP_2) | instskip(SKIP_1) | instid1(VALU_DEP_3)
	v_add_co_u32 v1, vcc_lo, v44, v1
	s_wait_alu 0xfffd
	v_add_co_ci_u32_e64 v2, null, v45, v2, vcc_lo
	s_delay_alu instid0(VALU_DEP_2) | instskip(SKIP_1) | instid1(VALU_DEP_2)
	v_sub_co_u32 v1, vcc_lo, v1, v3
	s_wait_alu 0xfffd
	v_sub_co_ci_u32_e64 v2, null, v2, v4, vcc_lo
	s_delay_alu instid0(VALU_DEP_2) | instskip(SKIP_1) | instid1(VALU_DEP_2)
	v_add_co_u32 v67, vcc_lo, v1, 4
	s_wait_alu 0xfffd
	v_add_co_ci_u32_e64 v68, null, 0, v2, vcc_lo
.LBB6_615:
	s_wait_alu 0xfffe
	s_or_saveexec_b32 s23, s0
	s_mov_b32 s0, s17
	s_wait_alu 0xfffe
	s_xor_b32 exec_lo, exec_lo, s23
	s_cbranch_execz .LBB6_758
; %bb.616:
	s_load_b64 s[2:3], s[52:53], 0x50
	v_mbcnt_lo_u32_b32 v31, -1, 0
	v_mov_b32_e32 v6, 0
	v_mov_b32_e32 v7, 0
	s_delay_alu instid0(VALU_DEP_3) | instskip(SKIP_1) | instid1(VALU_DEP_1)
	v_readfirstlane_b32 s0, v31
	s_wait_alu 0xf1ff
	v_cmp_eq_u32_e64 s0, s0, v31
	s_and_saveexec_b32 s1, s0
	s_cbranch_execz .LBB6_622
; %bb.617:
	v_mov_b32_e32 v0, 0
	s_mov_b32 s4, exec_lo
	s_wait_kmcnt 0x0
	global_load_b64 v[3:4], v0, s[2:3] offset:24 scope:SCOPE_SYS
	s_wait_loadcnt 0x0
	global_inv scope:SCOPE_SYS
	s_clause 0x1
	global_load_b64 v[1:2], v0, s[2:3] offset:40
	global_load_b64 v[5:6], v0, s[2:3]
	s_wait_loadcnt 0x1
	v_and_b32_e32 v2, v2, v4
	v_and_b32_e32 v1, v1, v3
	s_delay_alu instid0(VALU_DEP_2) | instskip(NEXT) | instid1(VALU_DEP_2)
	v_mul_lo_u32 v2, 24, v2
	v_mul_lo_u32 v7, 0, v1
	v_mul_hi_u32 v8, 24, v1
	v_mul_lo_u32 v1, 24, v1
	s_delay_alu instid0(VALU_DEP_3) | instskip(SKIP_1) | instid1(VALU_DEP_2)
	v_add_nc_u32_e32 v2, v2, v7
	s_wait_loadcnt 0x0
	v_add_co_u32 v1, vcc_lo, v5, v1
	s_delay_alu instid0(VALU_DEP_2) | instskip(SKIP_1) | instid1(VALU_DEP_1)
	v_add_nc_u32_e32 v2, v2, v8
	s_wait_alu 0xfffd
	v_add_co_ci_u32_e64 v2, null, v6, v2, vcc_lo
	global_load_b64 v[1:2], v[1:2], off scope:SCOPE_SYS
	s_wait_loadcnt 0x0
	global_atomic_cmpswap_b64 v[6:7], v0, v[1:4], s[2:3] offset:24 th:TH_ATOMIC_RETURN scope:SCOPE_SYS
	s_wait_loadcnt 0x0
	global_inv scope:SCOPE_SYS
	v_cmpx_ne_u64_e64 v[6:7], v[3:4]
	s_cbranch_execz .LBB6_621
; %bb.618:
	s_mov_b32 s5, 0
.LBB6_619:                              ; =>This Inner Loop Header: Depth=1
	s_sleep 1
	s_clause 0x1
	global_load_b64 v[1:2], v0, s[2:3] offset:40
	global_load_b64 v[8:9], v0, s[2:3]
	v_dual_mov_b32 v3, v6 :: v_dual_mov_b32 v4, v7
	s_wait_loadcnt 0x1
	s_delay_alu instid0(VALU_DEP_1) | instskip(NEXT) | instid1(VALU_DEP_2)
	v_and_b32_e32 v1, v1, v3
	v_and_b32_e32 v2, v2, v4
	s_wait_loadcnt 0x0
	s_delay_alu instid0(VALU_DEP_2) | instskip(NEXT) | instid1(VALU_DEP_1)
	v_mad_co_u64_u32 v[5:6], null, v1, 24, v[8:9]
	v_mov_b32_e32 v1, v6
	s_delay_alu instid0(VALU_DEP_1) | instskip(NEXT) | instid1(VALU_DEP_1)
	v_mad_co_u64_u32 v[1:2], null, v2, 24, v[1:2]
	v_mov_b32_e32 v6, v1
	global_load_b64 v[1:2], v[5:6], off scope:SCOPE_SYS
	s_wait_loadcnt 0x0
	global_atomic_cmpswap_b64 v[6:7], v0, v[1:4], s[2:3] offset:24 th:TH_ATOMIC_RETURN scope:SCOPE_SYS
	s_wait_loadcnt 0x0
	global_inv scope:SCOPE_SYS
	v_cmp_eq_u64_e32 vcc_lo, v[6:7], v[3:4]
	s_wait_alu 0xfffe
	s_or_b32 s5, vcc_lo, s5
	s_wait_alu 0xfffe
	s_and_not1_b32 exec_lo, exec_lo, s5
	s_cbranch_execnz .LBB6_619
; %bb.620:
	s_or_b32 exec_lo, exec_lo, s5
.LBB6_621:
	s_wait_alu 0xfffe
	s_or_b32 exec_lo, exec_lo, s4
.LBB6_622:
	s_wait_alu 0xfffe
	s_or_b32 exec_lo, exec_lo, s1
	v_readfirstlane_b32 s4, v6
	v_mov_b32_e32 v5, 0
	v_readfirstlane_b32 s5, v7
	s_mov_b32 s1, exec_lo
	s_wait_kmcnt 0x0
	s_clause 0x1
	global_load_b64 v[8:9], v5, s[2:3] offset:40
	global_load_b128 v[0:3], v5, s[2:3]
	s_wait_loadcnt 0x1
	s_wait_alu 0xf1ff
	v_and_b32_e32 v11, s5, v9
	v_and_b32_e32 v10, s4, v8
	s_delay_alu instid0(VALU_DEP_2) | instskip(NEXT) | instid1(VALU_DEP_2)
	v_mul_lo_u32 v4, 24, v11
	v_mul_lo_u32 v6, 0, v10
	v_mul_hi_u32 v7, 24, v10
	v_mul_lo_u32 v8, 24, v10
	s_delay_alu instid0(VALU_DEP_3) | instskip(SKIP_1) | instid1(VALU_DEP_2)
	v_add_nc_u32_e32 v4, v4, v6
	s_wait_loadcnt 0x0
	v_add_co_u32 v8, vcc_lo, v0, v8
	s_delay_alu instid0(VALU_DEP_2) | instskip(SKIP_1) | instid1(VALU_DEP_1)
	v_add_nc_u32_e32 v4, v4, v7
	s_wait_alu 0xfffd
	v_add_co_ci_u32_e64 v9, null, v1, v4, vcc_lo
	s_and_saveexec_b32 s6, s0
	s_cbranch_execz .LBB6_624
; %bb.623:
	s_wait_alu 0xfffe
	v_dual_mov_b32 v4, s1 :: v_dual_mov_b32 v7, 1
	v_mov_b32_e32 v6, 2
	global_store_b128 v[8:9], v[4:7], off offset:8
.LBB6_624:
	s_wait_alu 0xfffe
	s_or_b32 exec_lo, exec_lo, s6
	v_lshlrev_b64_e32 v[10:11], 12, v[10:11]
	v_dual_mov_b32 v7, v5 :: v_dual_lshlrev_b32 v30, 6, v31
	s_mov_b32 s8, 0
	s_wait_alu 0xfffe
	s_mov_b32 s11, s8
	s_delay_alu instid0(VALU_DEP_2)
	v_add_co_u32 v2, vcc_lo, v2, v10
	s_wait_alu 0xfffd
	v_add_co_ci_u32_e64 v3, null, v3, v11, vcc_lo
	s_mov_b32 s9, s8
	v_add_co_u32 v10, vcc_lo, v2, v30
	s_mov_b32 s10, s8
	s_wait_alu 0xfffe
	v_dual_mov_b32 v4, 33 :: v_dual_mov_b32 v15, s11
	v_dual_mov_b32 v6, v5 :: v_dual_mov_b32 v13, s9
	v_readfirstlane_b32 s6, v2
	v_readfirstlane_b32 s7, v3
	s_wait_alu 0xfffd
	v_add_co_ci_u32_e64 v11, null, 0, v3, vcc_lo
	v_mov_b32_e32 v14, s10
	v_mov_b32_e32 v12, s8
	s_clause 0x3
	global_store_b128 v30, v[4:7], s[6:7]
	global_store_b128 v30, v[12:15], s[6:7] offset:16
	global_store_b128 v30, v[12:15], s[6:7] offset:32
	;; [unrolled: 1-line block ×3, first 2 shown]
	s_and_saveexec_b32 s1, s0
	s_cbranch_execz .LBB6_632
; %bb.625:
	v_mov_b32_e32 v6, 0
	s_mov_b32 s6, exec_lo
	s_clause 0x1
	global_load_b64 v[14:15], v6, s[2:3] offset:32 scope:SCOPE_SYS
	global_load_b64 v[2:3], v6, s[2:3] offset:40
	v_dual_mov_b32 v13, s5 :: v_dual_mov_b32 v12, s4
	s_wait_loadcnt 0x0
	v_and_b32_e32 v3, s5, v3
	v_and_b32_e32 v2, s4, v2
	s_delay_alu instid0(VALU_DEP_2) | instskip(NEXT) | instid1(VALU_DEP_2)
	v_mul_lo_u32 v3, 24, v3
	v_mul_lo_u32 v4, 0, v2
	v_mul_hi_u32 v5, 24, v2
	v_mul_lo_u32 v2, 24, v2
	s_delay_alu instid0(VALU_DEP_3) | instskip(NEXT) | instid1(VALU_DEP_2)
	v_add_nc_u32_e32 v3, v3, v4
	v_add_co_u32 v4, vcc_lo, v0, v2
	s_delay_alu instid0(VALU_DEP_2) | instskip(SKIP_1) | instid1(VALU_DEP_1)
	v_add_nc_u32_e32 v3, v3, v5
	s_wait_alu 0xfffd
	v_add_co_ci_u32_e64 v5, null, v1, v3, vcc_lo
	global_store_b64 v[4:5], v[14:15], off
	global_wb scope:SCOPE_SYS
	s_wait_storecnt 0x0
	global_atomic_cmpswap_b64 v[2:3], v6, v[12:15], s[2:3] offset:32 th:TH_ATOMIC_RETURN scope:SCOPE_SYS
	s_wait_loadcnt 0x0
	v_cmpx_ne_u64_e64 v[2:3], v[14:15]
	s_cbranch_execz .LBB6_628
; %bb.626:
	s_mov_b32 s7, 0
.LBB6_627:                              ; =>This Inner Loop Header: Depth=1
	v_dual_mov_b32 v0, s4 :: v_dual_mov_b32 v1, s5
	s_sleep 1
	global_store_b64 v[4:5], v[2:3], off
	global_wb scope:SCOPE_SYS
	s_wait_storecnt 0x0
	global_atomic_cmpswap_b64 v[0:1], v6, v[0:3], s[2:3] offset:32 th:TH_ATOMIC_RETURN scope:SCOPE_SYS
	s_wait_loadcnt 0x0
	v_cmp_eq_u64_e32 vcc_lo, v[0:1], v[2:3]
	v_dual_mov_b32 v3, v1 :: v_dual_mov_b32 v2, v0
	s_wait_alu 0xfffe
	s_or_b32 s7, vcc_lo, s7
	s_wait_alu 0xfffe
	s_and_not1_b32 exec_lo, exec_lo, s7
	s_cbranch_execnz .LBB6_627
.LBB6_628:
	s_wait_alu 0xfffe
	s_or_b32 exec_lo, exec_lo, s6
	v_mov_b32_e32 v3, 0
	s_mov_b32 s7, exec_lo
	s_mov_b32 s6, exec_lo
	s_wait_alu 0xfffe
	v_mbcnt_lo_u32_b32 v2, s7, 0
	global_load_b64 v[0:1], v3, s[2:3] offset:16
	v_cmpx_eq_u32_e32 0, v2
	s_cbranch_execz .LBB6_630
; %bb.629:
	s_bcnt1_i32_b32 s7, s7
	s_wait_alu 0xfffe
	v_mov_b32_e32 v2, s7
	global_wb scope:SCOPE_SYS
	s_wait_loadcnt 0x0
	s_wait_storecnt 0x0
	global_atomic_add_u64 v[0:1], v[2:3], off offset:8 scope:SCOPE_SYS
.LBB6_630:
	s_or_b32 exec_lo, exec_lo, s6
	s_wait_loadcnt 0x0
	global_load_b64 v[2:3], v[0:1], off offset:16
	s_wait_loadcnt 0x0
	v_cmp_eq_u64_e32 vcc_lo, 0, v[2:3]
	s_cbranch_vccnz .LBB6_632
; %bb.631:
	global_load_b32 v0, v[0:1], off offset:24
	v_mov_b32_e32 v1, 0
	s_wait_loadcnt 0x0
	v_readfirstlane_b32 s6, v0
	global_wb scope:SCOPE_SYS
	s_wait_storecnt 0x0
	global_store_b64 v[2:3], v[0:1], off scope:SCOPE_SYS
	s_and_b32 m0, s6, 0xffffff
	s_sendmsg sendmsg(MSG_INTERRUPT)
.LBB6_632:
	s_wait_alu 0xfffe
	s_or_b32 exec_lo, exec_lo, s1
	s_branch .LBB6_636
.LBB6_633:                              ;   in Loop: Header=BB6_636 Depth=1
	s_wait_alu 0xfffe
	s_or_b32 exec_lo, exec_lo, s1
	s_delay_alu instid0(VALU_DEP_1)
	v_readfirstlane_b32 s1, v0
	s_cmp_eq_u32 s1, 0
	s_cbranch_scc1 .LBB6_635
; %bb.634:                              ;   in Loop: Header=BB6_636 Depth=1
	s_sleep 1
	s_cbranch_execnz .LBB6_636
	s_branch .LBB6_638
.LBB6_635:
	s_branch .LBB6_638
.LBB6_636:                              ; =>This Inner Loop Header: Depth=1
	v_mov_b32_e32 v0, 1
	s_and_saveexec_b32 s1, s0
	s_cbranch_execz .LBB6_633
; %bb.637:                              ;   in Loop: Header=BB6_636 Depth=1
	global_load_b32 v0, v[8:9], off offset:20 scope:SCOPE_SYS
	s_wait_loadcnt 0x0
	global_inv scope:SCOPE_SYS
	v_and_b32_e32 v0, 1, v0
	s_branch .LBB6_633
.LBB6_638:
	global_load_b64 v[0:1], v[10:11], off
	s_and_saveexec_b32 s6, s0
	s_cbranch_execz .LBB6_642
; %bb.639:
	v_mov_b32_e32 v8, 0
	s_clause 0x2
	global_load_b64 v[2:3], v8, s[2:3] offset:40
	global_load_b64 v[11:12], v8, s[2:3] offset:24 scope:SCOPE_SYS
	global_load_b64 v[4:5], v8, s[2:3]
	s_wait_loadcnt 0x2
	v_readfirstlane_b32 s8, v2
	v_readfirstlane_b32 s9, v3
	s_add_nc_u64 s[0:1], s[8:9], 1
	s_wait_alu 0xfffe
	s_add_nc_u64 s[4:5], s[0:1], s[4:5]
	s_wait_alu 0xfffe
	s_cmp_eq_u64 s[4:5], 0
	s_cselect_b32 s1, s1, s5
	s_cselect_b32 s0, s0, s4
	s_wait_alu 0xfffe
	v_mov_b32_e32 v10, s1
	s_and_b64 s[4:5], s[0:1], s[8:9]
	v_mov_b32_e32 v9, s0
	s_wait_alu 0xfffe
	s_mul_u64 s[4:5], s[4:5], 24
	s_wait_loadcnt 0x0
	s_wait_alu 0xfffe
	v_add_co_u32 v6, vcc_lo, v4, s4
	s_wait_alu 0xfffd
	v_add_co_ci_u32_e64 v7, null, s5, v5, vcc_lo
	global_store_b64 v[6:7], v[11:12], off
	global_wb scope:SCOPE_SYS
	s_wait_storecnt 0x0
	global_atomic_cmpswap_b64 v[4:5], v8, v[9:12], s[2:3] offset:24 th:TH_ATOMIC_RETURN scope:SCOPE_SYS
	s_wait_loadcnt 0x0
	v_cmp_ne_u64_e32 vcc_lo, v[4:5], v[11:12]
	s_and_b32 exec_lo, exec_lo, vcc_lo
	s_cbranch_execz .LBB6_642
; %bb.640:
	s_mov_b32 s4, 0
.LBB6_641:                              ; =>This Inner Loop Header: Depth=1
	v_dual_mov_b32 v2, s0 :: v_dual_mov_b32 v3, s1
	s_sleep 1
	global_store_b64 v[6:7], v[4:5], off
	global_wb scope:SCOPE_SYS
	s_wait_storecnt 0x0
	global_atomic_cmpswap_b64 v[2:3], v8, v[2:5], s[2:3] offset:24 th:TH_ATOMIC_RETURN scope:SCOPE_SYS
	s_wait_loadcnt 0x0
	v_cmp_eq_u64_e32 vcc_lo, v[2:3], v[4:5]
	v_dual_mov_b32 v5, v3 :: v_dual_mov_b32 v4, v2
	s_wait_alu 0xfffe
	s_or_b32 s4, vcc_lo, s4
	s_wait_alu 0xfffe
	s_and_not1_b32 exec_lo, exec_lo, s4
	s_cbranch_execnz .LBB6_641
.LBB6_642:
	s_wait_alu 0xfffe
	s_or_b32 exec_lo, exec_lo, s6
	s_getpc_b64 s[4:5]
	s_wait_alu 0xfffe
	s_sext_i32_i16 s5, s5
	s_add_co_u32 s4, s4, .str.28@rel32@lo+12
	s_wait_alu 0xfffe
	s_add_co_ci_u32 s5, s5, .str.28@rel32@hi+24
	s_wait_alu 0xfffe
	s_cmp_lg_u64 s[4:5], 0
	s_cbranch_scc0 .LBB6_728
; %bb.643:
	s_wait_loadcnt 0x0
	v_dual_mov_b32 v7, v1 :: v_dual_and_b32 v6, -3, v0
	v_dual_mov_b32 v3, 0 :: v_dual_mov_b32 v4, 2
	v_mov_b32_e32 v5, 1
	s_mov_b64 s[6:7], 35
	s_branch .LBB6_645
.LBB6_644:                              ;   in Loop: Header=BB6_645 Depth=1
	s_wait_alu 0xfffe
	s_or_b32 exec_lo, exec_lo, s12
	s_sub_nc_u64 s[6:7], s[6:7], s[8:9]
	s_add_nc_u64 s[4:5], s[4:5], s[8:9]
	s_wait_alu 0xfffe
	s_cmp_lg_u64 s[6:7], 0
	s_cbranch_scc0 .LBB6_727
.LBB6_645:                              ; =>This Loop Header: Depth=1
                                        ;     Child Loop BB6_648 Depth 2
                                        ;     Child Loop BB6_656 Depth 2
	;; [unrolled: 1-line block ×11, first 2 shown]
	s_wait_alu 0xfffe
	v_cmp_lt_u64_e64 s0, s[6:7], 56
	v_cmp_gt_u64_e64 s1, s[6:7], 7
	s_and_b32 s0, s0, exec_lo
	s_cselect_b32 s9, s7, 0
	s_cselect_b32 s8, s6, 56
	s_and_b32 vcc_lo, exec_lo, s1
	s_wait_alu 0xfffe
	s_cbranch_vccnz .LBB6_650
; %bb.646:                              ;   in Loop: Header=BB6_645 Depth=1
	s_wait_loadcnt 0x0
	v_mov_b32_e32 v8, 0
	v_mov_b32_e32 v9, 0
	s_cmp_eq_u64 s[6:7], 0
	s_cbranch_scc1 .LBB6_649
; %bb.647:                              ;   in Loop: Header=BB6_645 Depth=1
	s_mov_b64 s[0:1], 0
	s_mov_b64 s[10:11], 0
.LBB6_648:                              ;   Parent Loop BB6_645 Depth=1
                                        ; =>  This Inner Loop Header: Depth=2
	s_wait_alu 0xfffe
	s_add_nc_u64 s[12:13], s[4:5], s[10:11]
	s_add_nc_u64 s[10:11], s[10:11], 1
	global_load_u8 v2, v3, s[12:13]
	s_wait_alu 0xfffe
	s_cmp_lg_u32 s8, s10
	s_wait_loadcnt 0x0
	v_and_b32_e32 v2, 0xffff, v2
	s_delay_alu instid0(VALU_DEP_1) | instskip(SKIP_1) | instid1(VALU_DEP_1)
	v_lshlrev_b64_e32 v[10:11], s0, v[2:3]
	s_add_nc_u64 s[0:1], s[0:1], 8
	v_or_b32_e32 v8, v10, v8
	s_delay_alu instid0(VALU_DEP_2)
	v_or_b32_e32 v9, v11, v9
	s_cbranch_scc1 .LBB6_648
.LBB6_649:                              ;   in Loop: Header=BB6_645 Depth=1
	s_mov_b32 s0, 0
	s_mov_b64 s[10:11], s[4:5]
	s_branch .LBB6_651
.LBB6_650:                              ;   in Loop: Header=BB6_645 Depth=1
	s_add_nc_u64 s[10:11], s[4:5], 8
	s_mov_b32 s0, -1
.LBB6_651:                              ;   in Loop: Header=BB6_645 Depth=1
	s_wait_alu 0xfffe
	s_and_not1_b32 vcc_lo, exec_lo, s0
	s_mov_b32 s14, 0
	s_wait_alu 0xfffe
	s_cbranch_vccnz .LBB6_653
; %bb.652:                              ;   in Loop: Header=BB6_645 Depth=1
	s_wait_loadcnt 0x0
	global_load_b64 v[8:9], v3, s[4:5]
	s_add_co_i32 s14, s8, -8
.LBB6_653:                              ;   in Loop: Header=BB6_645 Depth=1
	s_wait_alu 0xfffe
	s_cmp_gt_u32 s14, 7
	s_cbranch_scc1 .LBB6_658
; %bb.654:                              ;   in Loop: Header=BB6_645 Depth=1
	v_mov_b32_e32 v10, 0
	v_mov_b32_e32 v11, 0
	s_cmp_eq_u32 s14, 0
	s_cbranch_scc1 .LBB6_657
; %bb.655:                              ;   in Loop: Header=BB6_645 Depth=1
	s_mov_b64 s[0:1], 0
	s_mov_b64 s[12:13], 0
.LBB6_656:                              ;   Parent Loop BB6_645 Depth=1
                                        ; =>  This Inner Loop Header: Depth=2
	s_wait_alu 0xfffe
	s_add_nc_u64 s[46:47], s[10:11], s[12:13]
	s_add_nc_u64 s[12:13], s[12:13], 1
	global_load_u8 v2, v3, s[46:47]
	s_wait_alu 0xfffe
	s_cmp_lg_u32 s14, s12
	s_wait_loadcnt 0x0
	v_and_b32_e32 v2, 0xffff, v2
	s_delay_alu instid0(VALU_DEP_1) | instskip(SKIP_1) | instid1(VALU_DEP_1)
	v_lshlrev_b64_e32 v[12:13], s0, v[2:3]
	s_add_nc_u64 s[0:1], s[0:1], 8
	v_or_b32_e32 v10, v12, v10
	s_delay_alu instid0(VALU_DEP_2)
	v_or_b32_e32 v11, v13, v11
	s_cbranch_scc1 .LBB6_656
.LBB6_657:                              ;   in Loop: Header=BB6_645 Depth=1
	s_mov_b32 s12, 0
	s_mov_b64 s[0:1], s[10:11]
	s_branch .LBB6_659
.LBB6_658:                              ;   in Loop: Header=BB6_645 Depth=1
	s_add_nc_u64 s[0:1], s[10:11], 8
	s_mov_b32 s12, -1
                                        ; implicit-def: $vgpr10_vgpr11
.LBB6_659:                              ;   in Loop: Header=BB6_645 Depth=1
	s_wait_alu 0xfffe
	s_and_not1_b32 vcc_lo, exec_lo, s12
	s_mov_b32 s15, 0
	s_wait_alu 0xfffe
	s_cbranch_vccnz .LBB6_661
; %bb.660:                              ;   in Loop: Header=BB6_645 Depth=1
	global_load_b64 v[10:11], v3, s[10:11]
	s_add_co_i32 s15, s14, -8
.LBB6_661:                              ;   in Loop: Header=BB6_645 Depth=1
	s_wait_alu 0xfffe
	s_cmp_gt_u32 s15, 7
	s_cbranch_scc1 .LBB6_666
; %bb.662:                              ;   in Loop: Header=BB6_645 Depth=1
	v_mov_b32_e32 v12, 0
	v_mov_b32_e32 v13, 0
	s_cmp_eq_u32 s15, 0
	s_cbranch_scc1 .LBB6_665
; %bb.663:                              ;   in Loop: Header=BB6_645 Depth=1
	s_mov_b64 s[10:11], 0
	s_mov_b64 s[12:13], 0
.LBB6_664:                              ;   Parent Loop BB6_645 Depth=1
                                        ; =>  This Inner Loop Header: Depth=2
	s_wait_alu 0xfffe
	s_add_nc_u64 s[46:47], s[0:1], s[12:13]
	s_add_nc_u64 s[12:13], s[12:13], 1
	global_load_u8 v2, v3, s[46:47]
	s_wait_alu 0xfffe
	s_cmp_lg_u32 s15, s12
	s_wait_loadcnt 0x0
	v_and_b32_e32 v2, 0xffff, v2
	s_delay_alu instid0(VALU_DEP_1) | instskip(SKIP_1) | instid1(VALU_DEP_1)
	v_lshlrev_b64_e32 v[14:15], s10, v[2:3]
	s_add_nc_u64 s[10:11], s[10:11], 8
	v_or_b32_e32 v12, v14, v12
	s_delay_alu instid0(VALU_DEP_2)
	v_or_b32_e32 v13, v15, v13
	s_cbranch_scc1 .LBB6_664
.LBB6_665:                              ;   in Loop: Header=BB6_645 Depth=1
	s_mov_b32 s12, 0
	s_mov_b64 s[10:11], s[0:1]
	s_branch .LBB6_667
.LBB6_666:                              ;   in Loop: Header=BB6_645 Depth=1
	s_add_nc_u64 s[10:11], s[0:1], 8
	s_mov_b32 s12, -1
.LBB6_667:                              ;   in Loop: Header=BB6_645 Depth=1
	s_wait_alu 0xfffe
	s_and_not1_b32 vcc_lo, exec_lo, s12
	s_mov_b32 s14, 0
	s_wait_alu 0xfffe
	s_cbranch_vccnz .LBB6_669
; %bb.668:                              ;   in Loop: Header=BB6_645 Depth=1
	global_load_b64 v[12:13], v3, s[0:1]
	s_add_co_i32 s14, s15, -8
.LBB6_669:                              ;   in Loop: Header=BB6_645 Depth=1
	s_wait_alu 0xfffe
	s_cmp_gt_u32 s14, 7
	s_cbranch_scc1 .LBB6_674
; %bb.670:                              ;   in Loop: Header=BB6_645 Depth=1
	v_mov_b32_e32 v14, 0
	v_mov_b32_e32 v15, 0
	s_cmp_eq_u32 s14, 0
	s_cbranch_scc1 .LBB6_673
; %bb.671:                              ;   in Loop: Header=BB6_645 Depth=1
	s_mov_b64 s[0:1], 0
	s_mov_b64 s[12:13], 0
.LBB6_672:                              ;   Parent Loop BB6_645 Depth=1
                                        ; =>  This Inner Loop Header: Depth=2
	s_wait_alu 0xfffe
	s_add_nc_u64 s[46:47], s[10:11], s[12:13]
	s_add_nc_u64 s[12:13], s[12:13], 1
	global_load_u8 v2, v3, s[46:47]
	s_wait_alu 0xfffe
	s_cmp_lg_u32 s14, s12
	s_wait_loadcnt 0x0
	v_and_b32_e32 v2, 0xffff, v2
	s_delay_alu instid0(VALU_DEP_1) | instskip(SKIP_1) | instid1(VALU_DEP_1)
	v_lshlrev_b64_e32 v[16:17], s0, v[2:3]
	s_add_nc_u64 s[0:1], s[0:1], 8
	v_or_b32_e32 v14, v16, v14
	s_delay_alu instid0(VALU_DEP_2)
	v_or_b32_e32 v15, v17, v15
	s_cbranch_scc1 .LBB6_672
.LBB6_673:                              ;   in Loop: Header=BB6_645 Depth=1
	s_mov_b32 s12, 0
	s_mov_b64 s[0:1], s[10:11]
	s_branch .LBB6_675
.LBB6_674:                              ;   in Loop: Header=BB6_645 Depth=1
	s_add_nc_u64 s[0:1], s[10:11], 8
	s_mov_b32 s12, -1
                                        ; implicit-def: $vgpr14_vgpr15
.LBB6_675:                              ;   in Loop: Header=BB6_645 Depth=1
	s_wait_alu 0xfffe
	s_and_not1_b32 vcc_lo, exec_lo, s12
	s_mov_b32 s15, 0
	s_wait_alu 0xfffe
	s_cbranch_vccnz .LBB6_677
; %bb.676:                              ;   in Loop: Header=BB6_645 Depth=1
	global_load_b64 v[14:15], v3, s[10:11]
	s_add_co_i32 s15, s14, -8
.LBB6_677:                              ;   in Loop: Header=BB6_645 Depth=1
	s_wait_alu 0xfffe
	s_cmp_gt_u32 s15, 7
	s_cbranch_scc1 .LBB6_682
; %bb.678:                              ;   in Loop: Header=BB6_645 Depth=1
	v_mov_b32_e32 v16, 0
	v_mov_b32_e32 v17, 0
	s_cmp_eq_u32 s15, 0
	s_cbranch_scc1 .LBB6_681
; %bb.679:                              ;   in Loop: Header=BB6_645 Depth=1
	s_mov_b64 s[10:11], 0
	s_mov_b64 s[12:13], 0
.LBB6_680:                              ;   Parent Loop BB6_645 Depth=1
                                        ; =>  This Inner Loop Header: Depth=2
	s_wait_alu 0xfffe
	s_add_nc_u64 s[46:47], s[0:1], s[12:13]
	s_add_nc_u64 s[12:13], s[12:13], 1
	global_load_u8 v2, v3, s[46:47]
	s_wait_alu 0xfffe
	s_cmp_lg_u32 s15, s12
	s_wait_loadcnt 0x0
	v_and_b32_e32 v2, 0xffff, v2
	s_delay_alu instid0(VALU_DEP_1) | instskip(SKIP_1) | instid1(VALU_DEP_1)
	v_lshlrev_b64_e32 v[18:19], s10, v[2:3]
	s_add_nc_u64 s[10:11], s[10:11], 8
	v_or_b32_e32 v16, v18, v16
	s_delay_alu instid0(VALU_DEP_2)
	v_or_b32_e32 v17, v19, v17
	s_cbranch_scc1 .LBB6_680
.LBB6_681:                              ;   in Loop: Header=BB6_645 Depth=1
	s_mov_b32 s12, 0
	s_mov_b64 s[10:11], s[0:1]
	s_branch .LBB6_683
.LBB6_682:                              ;   in Loop: Header=BB6_645 Depth=1
	s_add_nc_u64 s[10:11], s[0:1], 8
	s_mov_b32 s12, -1
.LBB6_683:                              ;   in Loop: Header=BB6_645 Depth=1
	s_wait_alu 0xfffe
	s_and_not1_b32 vcc_lo, exec_lo, s12
	s_mov_b32 s14, 0
	s_wait_alu 0xfffe
	s_cbranch_vccnz .LBB6_685
; %bb.684:                              ;   in Loop: Header=BB6_645 Depth=1
	global_load_b64 v[16:17], v3, s[0:1]
	s_add_co_i32 s14, s15, -8
.LBB6_685:                              ;   in Loop: Header=BB6_645 Depth=1
	s_wait_alu 0xfffe
	s_cmp_gt_u32 s14, 7
	s_cbranch_scc1 .LBB6_690
; %bb.686:                              ;   in Loop: Header=BB6_645 Depth=1
	v_mov_b32_e32 v18, 0
	v_mov_b32_e32 v19, 0
	s_cmp_eq_u32 s14, 0
	s_cbranch_scc1 .LBB6_689
; %bb.687:                              ;   in Loop: Header=BB6_645 Depth=1
	s_mov_b64 s[0:1], 0
	s_mov_b64 s[12:13], 0
.LBB6_688:                              ;   Parent Loop BB6_645 Depth=1
                                        ; =>  This Inner Loop Header: Depth=2
	s_wait_alu 0xfffe
	s_add_nc_u64 s[46:47], s[10:11], s[12:13]
	s_add_nc_u64 s[12:13], s[12:13], 1
	global_load_u8 v2, v3, s[46:47]
	s_wait_alu 0xfffe
	s_cmp_lg_u32 s14, s12
	s_wait_loadcnt 0x0
	v_and_b32_e32 v2, 0xffff, v2
	s_delay_alu instid0(VALU_DEP_1) | instskip(SKIP_1) | instid1(VALU_DEP_1)
	v_lshlrev_b64_e32 v[20:21], s0, v[2:3]
	s_add_nc_u64 s[0:1], s[0:1], 8
	v_or_b32_e32 v18, v20, v18
	s_delay_alu instid0(VALU_DEP_2)
	v_or_b32_e32 v19, v21, v19
	s_cbranch_scc1 .LBB6_688
.LBB6_689:                              ;   in Loop: Header=BB6_645 Depth=1
	s_mov_b32 s12, 0
	s_mov_b64 s[0:1], s[10:11]
	s_branch .LBB6_691
.LBB6_690:                              ;   in Loop: Header=BB6_645 Depth=1
	s_add_nc_u64 s[0:1], s[10:11], 8
	s_mov_b32 s12, -1
                                        ; implicit-def: $vgpr18_vgpr19
.LBB6_691:                              ;   in Loop: Header=BB6_645 Depth=1
	s_wait_alu 0xfffe
	s_and_not1_b32 vcc_lo, exec_lo, s12
	s_mov_b32 s15, 0
	s_wait_alu 0xfffe
	s_cbranch_vccnz .LBB6_693
; %bb.692:                              ;   in Loop: Header=BB6_645 Depth=1
	global_load_b64 v[18:19], v3, s[10:11]
	s_add_co_i32 s15, s14, -8
.LBB6_693:                              ;   in Loop: Header=BB6_645 Depth=1
	s_wait_alu 0xfffe
	s_cmp_gt_u32 s15, 7
	s_cbranch_scc1 .LBB6_698
; %bb.694:                              ;   in Loop: Header=BB6_645 Depth=1
	v_mov_b32_e32 v20, 0
	v_mov_b32_e32 v21, 0
	s_cmp_eq_u32 s15, 0
	s_cbranch_scc1 .LBB6_697
; %bb.695:                              ;   in Loop: Header=BB6_645 Depth=1
	s_mov_b64 s[10:11], 0
	s_mov_b64 s[12:13], s[0:1]
.LBB6_696:                              ;   Parent Loop BB6_645 Depth=1
                                        ; =>  This Inner Loop Header: Depth=2
	global_load_u8 v2, v3, s[12:13]
	s_add_co_i32 s15, s15, -1
	s_wait_alu 0xfffe
	s_add_nc_u64 s[12:13], s[12:13], 1
	s_cmp_lg_u32 s15, 0
	s_wait_loadcnt 0x0
	v_and_b32_e32 v2, 0xffff, v2
	s_delay_alu instid0(VALU_DEP_1) | instskip(SKIP_1) | instid1(VALU_DEP_1)
	v_lshlrev_b64_e32 v[22:23], s10, v[2:3]
	s_add_nc_u64 s[10:11], s[10:11], 8
	v_or_b32_e32 v20, v22, v20
	s_delay_alu instid0(VALU_DEP_2)
	v_or_b32_e32 v21, v23, v21
	s_cbranch_scc1 .LBB6_696
.LBB6_697:                              ;   in Loop: Header=BB6_645 Depth=1
	s_mov_b32 s10, 0
	s_branch .LBB6_699
.LBB6_698:                              ;   in Loop: Header=BB6_645 Depth=1
	s_mov_b32 s10, -1
.LBB6_699:                              ;   in Loop: Header=BB6_645 Depth=1
	s_wait_alu 0xfffe
	s_and_not1_b32 vcc_lo, exec_lo, s10
	s_wait_alu 0xfffe
	s_cbranch_vccnz .LBB6_701
; %bb.700:                              ;   in Loop: Header=BB6_645 Depth=1
	global_load_b64 v[20:21], v3, s[0:1]
.LBB6_701:                              ;   in Loop: Header=BB6_645 Depth=1
	v_readfirstlane_b32 s0, v31
	v_mov_b32_e32 v26, 0
	v_mov_b32_e32 v27, 0
	s_wait_alu 0xf1ff
	s_delay_alu instid0(VALU_DEP_3)
	v_cmp_eq_u32_e64 s0, s0, v31
	s_and_saveexec_b32 s1, s0
	s_cbranch_execz .LBB6_707
; %bb.702:                              ;   in Loop: Header=BB6_645 Depth=1
	global_load_b64 v[24:25], v3, s[2:3] offset:24 scope:SCOPE_SYS
	s_wait_loadcnt 0x0
	global_inv scope:SCOPE_SYS
	s_clause 0x1
	global_load_b64 v[22:23], v3, s[2:3] offset:40
	global_load_b64 v[26:27], v3, s[2:3]
	s_mov_b32 s10, exec_lo
	s_wait_loadcnt 0x1
	v_and_b32_e32 v2, v23, v25
	v_and_b32_e32 v22, v22, v24
	s_delay_alu instid0(VALU_DEP_2) | instskip(NEXT) | instid1(VALU_DEP_2)
	v_mul_lo_u32 v2, 24, v2
	v_mul_lo_u32 v23, 0, v22
	v_mul_hi_u32 v28, 24, v22
	v_mul_lo_u32 v22, 24, v22
	s_delay_alu instid0(VALU_DEP_3) | instskip(SKIP_1) | instid1(VALU_DEP_2)
	v_add_nc_u32_e32 v2, v2, v23
	s_wait_loadcnt 0x0
	v_add_co_u32 v22, vcc_lo, v26, v22
	s_delay_alu instid0(VALU_DEP_2) | instskip(SKIP_1) | instid1(VALU_DEP_1)
	v_add_nc_u32_e32 v2, v2, v28
	s_wait_alu 0xfffd
	v_add_co_ci_u32_e64 v23, null, v27, v2, vcc_lo
	global_load_b64 v[22:23], v[22:23], off scope:SCOPE_SYS
	s_wait_loadcnt 0x0
	global_atomic_cmpswap_b64 v[26:27], v3, v[22:25], s[2:3] offset:24 th:TH_ATOMIC_RETURN scope:SCOPE_SYS
	s_wait_loadcnt 0x0
	global_inv scope:SCOPE_SYS
	v_cmpx_ne_u64_e64 v[26:27], v[24:25]
	s_cbranch_execz .LBB6_706
; %bb.703:                              ;   in Loop: Header=BB6_645 Depth=1
	s_mov_b32 s11, 0
.LBB6_704:                              ;   Parent Loop BB6_645 Depth=1
                                        ; =>  This Inner Loop Header: Depth=2
	s_sleep 1
	s_clause 0x1
	global_load_b64 v[22:23], v3, s[2:3] offset:40
	global_load_b64 v[28:29], v3, s[2:3]
	v_dual_mov_b32 v24, v26 :: v_dual_mov_b32 v25, v27
	s_wait_loadcnt 0x1
	s_delay_alu instid0(VALU_DEP_1) | instskip(NEXT) | instid1(VALU_DEP_2)
	v_and_b32_e32 v2, v22, v24
	v_and_b32_e32 v22, v23, v25
	s_wait_loadcnt 0x0
	s_delay_alu instid0(VALU_DEP_2) | instskip(NEXT) | instid1(VALU_DEP_1)
	v_mad_co_u64_u32 v[26:27], null, v2, 24, v[28:29]
	v_mov_b32_e32 v2, v27
	s_delay_alu instid0(VALU_DEP_1) | instskip(NEXT) | instid1(VALU_DEP_1)
	v_mad_co_u64_u32 v[22:23], null, v22, 24, v[2:3]
	v_mov_b32_e32 v27, v22
	global_load_b64 v[22:23], v[26:27], off scope:SCOPE_SYS
	s_wait_loadcnt 0x0
	global_atomic_cmpswap_b64 v[26:27], v3, v[22:25], s[2:3] offset:24 th:TH_ATOMIC_RETURN scope:SCOPE_SYS
	s_wait_loadcnt 0x0
	global_inv scope:SCOPE_SYS
	v_cmp_eq_u64_e32 vcc_lo, v[26:27], v[24:25]
	s_wait_alu 0xfffe
	s_or_b32 s11, vcc_lo, s11
	s_wait_alu 0xfffe
	s_and_not1_b32 exec_lo, exec_lo, s11
	s_cbranch_execnz .LBB6_704
; %bb.705:                              ;   in Loop: Header=BB6_645 Depth=1
	s_or_b32 exec_lo, exec_lo, s11
.LBB6_706:                              ;   in Loop: Header=BB6_645 Depth=1
	s_wait_alu 0xfffe
	s_or_b32 exec_lo, exec_lo, s10
.LBB6_707:                              ;   in Loop: Header=BB6_645 Depth=1
	s_wait_alu 0xfffe
	s_or_b32 exec_lo, exec_lo, s1
	s_clause 0x1
	global_load_b64 v[28:29], v3, s[2:3] offset:40
	global_load_b128 v[22:25], v3, s[2:3]
	v_readfirstlane_b32 s11, v27
	v_readfirstlane_b32 s10, v26
	s_mov_b32 s1, exec_lo
	s_wait_loadcnt 0x1
	s_wait_alu 0xf1ff
	v_and_b32_e32 v29, s11, v29
	v_and_b32_e32 v28, s10, v28
	s_delay_alu instid0(VALU_DEP_2) | instskip(NEXT) | instid1(VALU_DEP_2)
	v_mul_lo_u32 v2, 24, v29
	v_mul_lo_u32 v26, 0, v28
	v_mul_hi_u32 v27, 24, v28
	v_mul_lo_u32 v32, 24, v28
	s_delay_alu instid0(VALU_DEP_3) | instskip(SKIP_1) | instid1(VALU_DEP_2)
	v_add_nc_u32_e32 v2, v2, v26
	s_wait_loadcnt 0x0
	v_add_co_u32 v26, vcc_lo, v22, v32
	s_delay_alu instid0(VALU_DEP_2) | instskip(SKIP_1) | instid1(VALU_DEP_1)
	v_add_nc_u32_e32 v2, v2, v27
	s_wait_alu 0xfffd
	v_add_co_ci_u32_e64 v27, null, v23, v2, vcc_lo
	s_and_saveexec_b32 s12, s0
	s_cbranch_execz .LBB6_709
; %bb.708:                              ;   in Loop: Header=BB6_645 Depth=1
	s_wait_alu 0xfffe
	v_mov_b32_e32 v2, s1
	global_store_b128 v[26:27], v[2:5], off offset:8
.LBB6_709:                              ;   in Loop: Header=BB6_645 Depth=1
	s_wait_alu 0xfffe
	s_or_b32 exec_lo, exec_lo, s12
	v_cmp_gt_u64_e64 s1, s[6:7], 56
	v_lshlrev_b64_e32 v[28:29], 12, v[28:29]
	v_and_b32_e32 v2, 0xffffff1f, v6
	s_and_b32 s1, s1, exec_lo
	s_delay_alu instid0(VALU_DEP_2)
	v_add_co_u32 v24, vcc_lo, v24, v28
	s_cselect_b32 s1, 0, 2
	s_wait_alu 0xfffd
	v_add_co_ci_u32_e64 v25, null, v25, v29, vcc_lo
	s_wait_alu 0xfffe
	v_or_b32_e32 v2, s1, v2
	s_lshl_b32 s12, s8, 2
	s_wait_alu 0xfffe
	s_add_co_i32 s1, s12, 28
	v_readfirstlane_b32 s12, v24
	v_readfirstlane_b32 s13, v25
	s_wait_alu 0xfffe
	v_and_or_b32 v6, 0x1e0, s1, v2
	s_clause 0x3
	global_store_b128 v30, v[6:9], s[12:13]
	global_store_b128 v30, v[10:13], s[12:13] offset:16
	global_store_b128 v30, v[14:17], s[12:13] offset:32
	;; [unrolled: 1-line block ×3, first 2 shown]
	s_and_saveexec_b32 s1, s0
	s_cbranch_execz .LBB6_717
; %bb.710:                              ;   in Loop: Header=BB6_645 Depth=1
	s_clause 0x1
	global_load_b64 v[14:15], v3, s[2:3] offset:32 scope:SCOPE_SYS
	global_load_b64 v[6:7], v3, s[2:3] offset:40
	v_mov_b32_e32 v12, s10
	s_mov_b32 s12, exec_lo
	s_wait_loadcnt 0x0
	v_dual_mov_b32 v13, s11 :: v_dual_and_b32 v2, s11, v7
	v_and_b32_e32 v6, s10, v6
	s_delay_alu instid0(VALU_DEP_2) | instskip(NEXT) | instid1(VALU_DEP_2)
	v_mul_lo_u32 v2, 24, v2
	v_mul_lo_u32 v7, 0, v6
	v_mul_hi_u32 v8, 24, v6
	v_mul_lo_u32 v6, 24, v6
	s_delay_alu instid0(VALU_DEP_3) | instskip(NEXT) | instid1(VALU_DEP_2)
	v_add_nc_u32_e32 v2, v2, v7
	v_add_co_u32 v10, vcc_lo, v22, v6
	s_delay_alu instid0(VALU_DEP_2) | instskip(SKIP_1) | instid1(VALU_DEP_1)
	v_add_nc_u32_e32 v2, v2, v8
	s_wait_alu 0xfffd
	v_add_co_ci_u32_e64 v11, null, v23, v2, vcc_lo
	global_store_b64 v[10:11], v[14:15], off
	global_wb scope:SCOPE_SYS
	s_wait_storecnt 0x0
	global_atomic_cmpswap_b64 v[8:9], v3, v[12:15], s[2:3] offset:32 th:TH_ATOMIC_RETURN scope:SCOPE_SYS
	s_wait_loadcnt 0x0
	v_cmpx_ne_u64_e64 v[8:9], v[14:15]
	s_cbranch_execz .LBB6_713
; %bb.711:                              ;   in Loop: Header=BB6_645 Depth=1
	s_mov_b32 s13, 0
.LBB6_712:                              ;   Parent Loop BB6_645 Depth=1
                                        ; =>  This Inner Loop Header: Depth=2
	v_dual_mov_b32 v6, s10 :: v_dual_mov_b32 v7, s11
	s_sleep 1
	global_store_b64 v[10:11], v[8:9], off
	global_wb scope:SCOPE_SYS
	s_wait_storecnt 0x0
	global_atomic_cmpswap_b64 v[6:7], v3, v[6:9], s[2:3] offset:32 th:TH_ATOMIC_RETURN scope:SCOPE_SYS
	s_wait_loadcnt 0x0
	v_cmp_eq_u64_e32 vcc_lo, v[6:7], v[8:9]
	v_dual_mov_b32 v9, v7 :: v_dual_mov_b32 v8, v6
	s_wait_alu 0xfffe
	s_or_b32 s13, vcc_lo, s13
	s_wait_alu 0xfffe
	s_and_not1_b32 exec_lo, exec_lo, s13
	s_cbranch_execnz .LBB6_712
.LBB6_713:                              ;   in Loop: Header=BB6_645 Depth=1
	s_wait_alu 0xfffe
	s_or_b32 exec_lo, exec_lo, s12
	global_load_b64 v[6:7], v3, s[2:3] offset:16
	s_mov_b32 s13, exec_lo
	s_mov_b32 s12, exec_lo
	s_wait_alu 0xfffe
	v_mbcnt_lo_u32_b32 v2, s13, 0
	s_delay_alu instid0(VALU_DEP_1)
	v_cmpx_eq_u32_e32 0, v2
	s_cbranch_execz .LBB6_715
; %bb.714:                              ;   in Loop: Header=BB6_645 Depth=1
	s_bcnt1_i32_b32 s13, s13
	s_wait_alu 0xfffe
	v_mov_b32_e32 v2, s13
	global_wb scope:SCOPE_SYS
	s_wait_loadcnt 0x0
	s_wait_storecnt 0x0
	global_atomic_add_u64 v[6:7], v[2:3], off offset:8 scope:SCOPE_SYS
.LBB6_715:                              ;   in Loop: Header=BB6_645 Depth=1
	s_or_b32 exec_lo, exec_lo, s12
	s_wait_loadcnt 0x0
	global_load_b64 v[8:9], v[6:7], off offset:16
	s_wait_loadcnt 0x0
	v_cmp_eq_u64_e32 vcc_lo, 0, v[8:9]
	s_cbranch_vccnz .LBB6_717
; %bb.716:                              ;   in Loop: Header=BB6_645 Depth=1
	global_load_b32 v2, v[6:7], off offset:24
	s_wait_loadcnt 0x0
	v_readfirstlane_b32 s12, v2
	global_wb scope:SCOPE_SYS
	s_wait_storecnt 0x0
	global_store_b64 v[8:9], v[2:3], off scope:SCOPE_SYS
	s_and_b32 m0, s12, 0xffffff
	s_sendmsg sendmsg(MSG_INTERRUPT)
.LBB6_717:                              ;   in Loop: Header=BB6_645 Depth=1
	s_wait_alu 0xfffe
	s_or_b32 exec_lo, exec_lo, s1
	v_add_co_u32 v6, vcc_lo, v24, v30
	s_wait_alu 0xfffd
	v_add_co_ci_u32_e64 v7, null, 0, v25, vcc_lo
	s_branch .LBB6_721
.LBB6_718:                              ;   in Loop: Header=BB6_721 Depth=2
	s_wait_alu 0xfffe
	s_or_b32 exec_lo, exec_lo, s1
	s_delay_alu instid0(VALU_DEP_1)
	v_readfirstlane_b32 s1, v2
	s_cmp_eq_u32 s1, 0
	s_cbranch_scc1 .LBB6_720
; %bb.719:                              ;   in Loop: Header=BB6_721 Depth=2
	s_sleep 1
	s_cbranch_execnz .LBB6_721
	s_branch .LBB6_723
.LBB6_720:                              ;   in Loop: Header=BB6_645 Depth=1
	s_branch .LBB6_723
.LBB6_721:                              ;   Parent Loop BB6_645 Depth=1
                                        ; =>  This Inner Loop Header: Depth=2
	v_mov_b32_e32 v2, 1
	s_and_saveexec_b32 s1, s0
	s_cbranch_execz .LBB6_718
; %bb.722:                              ;   in Loop: Header=BB6_721 Depth=2
	global_load_b32 v2, v[26:27], off offset:20 scope:SCOPE_SYS
	s_wait_loadcnt 0x0
	global_inv scope:SCOPE_SYS
	v_and_b32_e32 v2, 1, v2
	s_branch .LBB6_718
.LBB6_723:                              ;   in Loop: Header=BB6_645 Depth=1
	global_load_b128 v[6:9], v[6:7], off
	s_and_saveexec_b32 s12, s0
	s_cbranch_execz .LBB6_644
; %bb.724:                              ;   in Loop: Header=BB6_645 Depth=1
	s_wait_loadcnt 0x0
	s_clause 0x2
	global_load_b64 v[8:9], v3, s[2:3] offset:40
	global_load_b64 v[16:17], v3, s[2:3] offset:24 scope:SCOPE_SYS
	global_load_b64 v[10:11], v3, s[2:3]
	s_wait_loadcnt 0x2
	v_readfirstlane_b32 s14, v8
	v_readfirstlane_b32 s15, v9
	s_add_nc_u64 s[0:1], s[14:15], 1
	s_wait_alu 0xfffe
	s_add_nc_u64 s[10:11], s[0:1], s[10:11]
	s_wait_alu 0xfffe
	s_cmp_eq_u64 s[10:11], 0
	s_cselect_b32 s1, s1, s11
	s_cselect_b32 s0, s0, s10
	s_wait_alu 0xfffe
	v_dual_mov_b32 v15, s1 :: v_dual_mov_b32 v14, s0
	s_and_b64 s[10:11], s[0:1], s[14:15]
	s_wait_alu 0xfffe
	s_mul_u64 s[10:11], s[10:11], 24
	s_wait_loadcnt 0x0
	s_wait_alu 0xfffe
	v_add_co_u32 v12, vcc_lo, v10, s10
	s_wait_alu 0xfffd
	v_add_co_ci_u32_e64 v13, null, s11, v11, vcc_lo
	global_store_b64 v[12:13], v[16:17], off
	global_wb scope:SCOPE_SYS
	s_wait_storecnt 0x0
	global_atomic_cmpswap_b64 v[10:11], v3, v[14:17], s[2:3] offset:24 th:TH_ATOMIC_RETURN scope:SCOPE_SYS
	s_wait_loadcnt 0x0
	v_cmp_ne_u64_e32 vcc_lo, v[10:11], v[16:17]
	s_and_b32 exec_lo, exec_lo, vcc_lo
	s_cbranch_execz .LBB6_644
; %bb.725:                              ;   in Loop: Header=BB6_645 Depth=1
	s_mov_b32 s10, 0
.LBB6_726:                              ;   Parent Loop BB6_645 Depth=1
                                        ; =>  This Inner Loop Header: Depth=2
	v_dual_mov_b32 v8, s0 :: v_dual_mov_b32 v9, s1
	s_sleep 1
	global_store_b64 v[12:13], v[10:11], off
	global_wb scope:SCOPE_SYS
	s_wait_storecnt 0x0
	global_atomic_cmpswap_b64 v[8:9], v3, v[8:11], s[2:3] offset:24 th:TH_ATOMIC_RETURN scope:SCOPE_SYS
	s_wait_loadcnt 0x0
	v_cmp_eq_u64_e32 vcc_lo, v[8:9], v[10:11]
	v_dual_mov_b32 v11, v9 :: v_dual_mov_b32 v10, v8
	s_wait_alu 0xfffe
	s_or_b32 s10, vcc_lo, s10
	s_wait_alu 0xfffe
	s_and_not1_b32 exec_lo, exec_lo, s10
	s_cbranch_execnz .LBB6_726
	s_branch .LBB6_644
.LBB6_727:
	s_mov_b32 s0, 0
	s_branch .LBB6_729
.LBB6_728:
	s_mov_b32 s0, -1
.LBB6_729:
	s_wait_alu 0xfffe
	s_and_b32 vcc_lo, exec_lo, s0
	s_wait_alu 0xfffe
	s_cbranch_vccz .LBB6_757
; %bb.730:
	v_readfirstlane_b32 s0, v31
	s_wait_loadcnt 0x0
	v_mov_b32_e32 v8, 0
	v_mov_b32_e32 v9, 0
	s_wait_alu 0xf1ff
	v_cmp_eq_u32_e64 s0, s0, v31
	s_and_saveexec_b32 s1, s0
	s_cbranch_execz .LBB6_736
; %bb.731:
	v_mov_b32_e32 v2, 0
	s_mov_b32 s4, exec_lo
	global_load_b64 v[5:6], v2, s[2:3] offset:24 scope:SCOPE_SYS
	s_wait_loadcnt 0x0
	global_inv scope:SCOPE_SYS
	s_clause 0x1
	global_load_b64 v[3:4], v2, s[2:3] offset:40
	global_load_b64 v[7:8], v2, s[2:3]
	s_wait_loadcnt 0x1
	v_and_b32_e32 v4, v4, v6
	v_and_b32_e32 v3, v3, v5
	s_delay_alu instid0(VALU_DEP_2) | instskip(NEXT) | instid1(VALU_DEP_2)
	v_mul_lo_u32 v4, 24, v4
	v_mul_lo_u32 v9, 0, v3
	v_mul_hi_u32 v10, 24, v3
	v_mul_lo_u32 v3, 24, v3
	s_delay_alu instid0(VALU_DEP_3) | instskip(SKIP_1) | instid1(VALU_DEP_2)
	v_add_nc_u32_e32 v4, v4, v9
	s_wait_loadcnt 0x0
	v_add_co_u32 v3, vcc_lo, v7, v3
	s_delay_alu instid0(VALU_DEP_2) | instskip(SKIP_1) | instid1(VALU_DEP_1)
	v_add_nc_u32_e32 v4, v4, v10
	s_wait_alu 0xfffd
	v_add_co_ci_u32_e64 v4, null, v8, v4, vcc_lo
	global_load_b64 v[3:4], v[3:4], off scope:SCOPE_SYS
	s_wait_loadcnt 0x0
	global_atomic_cmpswap_b64 v[8:9], v2, v[3:6], s[2:3] offset:24 th:TH_ATOMIC_RETURN scope:SCOPE_SYS
	s_wait_loadcnt 0x0
	global_inv scope:SCOPE_SYS
	v_cmpx_ne_u64_e64 v[8:9], v[5:6]
	s_cbranch_execz .LBB6_735
; %bb.732:
	s_mov_b32 s5, 0
.LBB6_733:                              ; =>This Inner Loop Header: Depth=1
	s_sleep 1
	s_clause 0x1
	global_load_b64 v[3:4], v2, s[2:3] offset:40
	global_load_b64 v[10:11], v2, s[2:3]
	v_dual_mov_b32 v5, v8 :: v_dual_mov_b32 v6, v9
	s_wait_loadcnt 0x1
	s_delay_alu instid0(VALU_DEP_1) | instskip(NEXT) | instid1(VALU_DEP_2)
	v_and_b32_e32 v3, v3, v5
	v_and_b32_e32 v4, v4, v6
	s_wait_loadcnt 0x0
	s_delay_alu instid0(VALU_DEP_2) | instskip(NEXT) | instid1(VALU_DEP_1)
	v_mad_co_u64_u32 v[7:8], null, v3, 24, v[10:11]
	v_mov_b32_e32 v3, v8
	s_delay_alu instid0(VALU_DEP_1) | instskip(NEXT) | instid1(VALU_DEP_1)
	v_mad_co_u64_u32 v[3:4], null, v4, 24, v[3:4]
	v_mov_b32_e32 v8, v3
	global_load_b64 v[3:4], v[7:8], off scope:SCOPE_SYS
	s_wait_loadcnt 0x0
	global_atomic_cmpswap_b64 v[8:9], v2, v[3:6], s[2:3] offset:24 th:TH_ATOMIC_RETURN scope:SCOPE_SYS
	s_wait_loadcnt 0x0
	global_inv scope:SCOPE_SYS
	v_cmp_eq_u64_e32 vcc_lo, v[8:9], v[5:6]
	s_wait_alu 0xfffe
	s_or_b32 s5, vcc_lo, s5
	s_wait_alu 0xfffe
	s_and_not1_b32 exec_lo, exec_lo, s5
	s_cbranch_execnz .LBB6_733
; %bb.734:
	s_or_b32 exec_lo, exec_lo, s5
	s_mov_b32 s29, 0
.LBB6_735:
	s_wait_alu 0xfffe
	s_or_b32 exec_lo, exec_lo, s4
.LBB6_736:
	s_wait_alu 0xfffe
	s_or_b32 exec_lo, exec_lo, s1
	v_readfirstlane_b32 s5, v9
	v_mov_b32_e32 v2, 0
	v_readfirstlane_b32 s4, v8
	s_mov_b32 s1, exec_lo
	s_clause 0x1
	global_load_b64 v[10:11], v2, s[2:3] offset:40
	global_load_b128 v[4:7], v2, s[2:3]
	s_wait_loadcnt 0x1
	s_wait_alu 0xf1ff
	v_and_b32_e32 v11, s5, v11
	v_and_b32_e32 v10, s4, v10
	s_delay_alu instid0(VALU_DEP_2) | instskip(NEXT) | instid1(VALU_DEP_2)
	v_mul_lo_u32 v3, 24, v11
	v_mul_lo_u32 v8, 0, v10
	v_mul_hi_u32 v9, 24, v10
	v_mul_lo_u32 v12, 24, v10
	s_delay_alu instid0(VALU_DEP_3) | instskip(SKIP_1) | instid1(VALU_DEP_2)
	v_add_nc_u32_e32 v3, v3, v8
	s_wait_loadcnt 0x0
	v_add_co_u32 v8, vcc_lo, v4, v12
	s_delay_alu instid0(VALU_DEP_2) | instskip(SKIP_1) | instid1(VALU_DEP_1)
	v_add_nc_u32_e32 v3, v3, v9
	s_wait_alu 0xfffd
	v_add_co_ci_u32_e64 v9, null, v5, v3, vcc_lo
	s_and_saveexec_b32 s6, s0
	s_cbranch_execz .LBB6_738
; %bb.737:
	s_wait_alu 0xfffe
	v_dual_mov_b32 v12, s1 :: v_dual_mov_b32 v13, v2
	v_dual_mov_b32 v14, 2 :: v_dual_mov_b32 v15, 1
	global_store_b128 v[8:9], v[12:15], off offset:8
.LBB6_738:
	s_wait_alu 0xfffe
	s_or_b32 exec_lo, exec_lo, s6
	v_lshlrev_b64_e32 v[10:11], 12, v[10:11]
	s_mov_b32 s8, 0
	v_and_or_b32 v0, 0xffffff1d, v0, 34
	s_wait_alu 0xfffe
	s_mov_b32 s11, s8
	s_mov_b32 s9, s8
	;; [unrolled: 1-line block ×3, first 2 shown]
	v_add_co_u32 v6, vcc_lo, v6, v10
	s_wait_alu 0xfffd
	v_add_co_ci_u32_e64 v7, null, v7, v11, vcc_lo
	v_mov_b32_e32 v3, v2
	s_delay_alu instid0(VALU_DEP_3)
	v_readfirstlane_b32 s6, v6
	s_wait_alu 0xfffe
	v_dual_mov_b32 v13, s11 :: v_dual_mov_b32 v10, s8
	v_readfirstlane_b32 s7, v7
	v_dual_mov_b32 v12, s10 :: v_dual_mov_b32 v11, s9
	s_clause 0x3
	global_store_b128 v30, v[0:3], s[6:7]
	global_store_b128 v30, v[10:13], s[6:7] offset:16
	global_store_b128 v30, v[10:13], s[6:7] offset:32
	;; [unrolled: 1-line block ×3, first 2 shown]
	s_and_saveexec_b32 s1, s0
	s_cbranch_execz .LBB6_746
; %bb.739:
	v_mov_b32_e32 v6, 0
	s_mov_b32 s6, exec_lo
	s_clause 0x1
	global_load_b64 v[12:13], v6, s[2:3] offset:32 scope:SCOPE_SYS
	global_load_b64 v[0:1], v6, s[2:3] offset:40
	v_dual_mov_b32 v11, s5 :: v_dual_mov_b32 v10, s4
	s_wait_loadcnt 0x0
	v_and_b32_e32 v1, s5, v1
	v_and_b32_e32 v0, s4, v0
	s_delay_alu instid0(VALU_DEP_2) | instskip(NEXT) | instid1(VALU_DEP_2)
	v_mul_lo_u32 v1, 24, v1
	v_mul_lo_u32 v2, 0, v0
	v_mul_hi_u32 v3, 24, v0
	v_mul_lo_u32 v0, 24, v0
	s_delay_alu instid0(VALU_DEP_3) | instskip(NEXT) | instid1(VALU_DEP_2)
	v_add_nc_u32_e32 v1, v1, v2
	v_add_co_u32 v4, vcc_lo, v4, v0
	s_delay_alu instid0(VALU_DEP_2) | instskip(SKIP_1) | instid1(VALU_DEP_1)
	v_add_nc_u32_e32 v1, v1, v3
	s_wait_alu 0xfffd
	v_add_co_ci_u32_e64 v5, null, v5, v1, vcc_lo
	global_store_b64 v[4:5], v[12:13], off
	global_wb scope:SCOPE_SYS
	s_wait_storecnt 0x0
	global_atomic_cmpswap_b64 v[2:3], v6, v[10:13], s[2:3] offset:32 th:TH_ATOMIC_RETURN scope:SCOPE_SYS
	s_wait_loadcnt 0x0
	v_cmpx_ne_u64_e64 v[2:3], v[12:13]
	s_cbranch_execz .LBB6_742
; %bb.740:
	s_mov_b32 s7, 0
.LBB6_741:                              ; =>This Inner Loop Header: Depth=1
	v_dual_mov_b32 v0, s4 :: v_dual_mov_b32 v1, s5
	s_sleep 1
	global_store_b64 v[4:5], v[2:3], off
	global_wb scope:SCOPE_SYS
	s_wait_storecnt 0x0
	global_atomic_cmpswap_b64 v[0:1], v6, v[0:3], s[2:3] offset:32 th:TH_ATOMIC_RETURN scope:SCOPE_SYS
	s_wait_loadcnt 0x0
	v_cmp_eq_u64_e32 vcc_lo, v[0:1], v[2:3]
	v_dual_mov_b32 v3, v1 :: v_dual_mov_b32 v2, v0
	s_wait_alu 0xfffe
	s_or_b32 s7, vcc_lo, s7
	s_wait_alu 0xfffe
	s_and_not1_b32 exec_lo, exec_lo, s7
	s_cbranch_execnz .LBB6_741
.LBB6_742:
	s_wait_alu 0xfffe
	s_or_b32 exec_lo, exec_lo, s6
	v_mov_b32_e32 v3, 0
	s_mov_b32 s7, exec_lo
	s_mov_b32 s6, exec_lo
	s_wait_alu 0xfffe
	v_mbcnt_lo_u32_b32 v2, s7, 0
	global_load_b64 v[0:1], v3, s[2:3] offset:16
	v_cmpx_eq_u32_e32 0, v2
	s_cbranch_execz .LBB6_744
; %bb.743:
	s_bcnt1_i32_b32 s7, s7
	s_wait_alu 0xfffe
	v_mov_b32_e32 v2, s7
	global_wb scope:SCOPE_SYS
	s_wait_loadcnt 0x0
	s_wait_storecnt 0x0
	global_atomic_add_u64 v[0:1], v[2:3], off offset:8 scope:SCOPE_SYS
.LBB6_744:
	s_or_b32 exec_lo, exec_lo, s6
	s_wait_loadcnt 0x0
	global_load_b64 v[2:3], v[0:1], off offset:16
	s_mov_b32 s29, 0
	s_wait_loadcnt 0x0
	v_cmp_eq_u64_e32 vcc_lo, 0, v[2:3]
	s_cbranch_vccnz .LBB6_746
; %bb.745:
	global_load_b32 v0, v[0:1], off offset:24
	v_mov_b32_e32 v1, 0
	s_wait_loadcnt 0x0
	v_readfirstlane_b32 s6, v0
	global_wb scope:SCOPE_SYS
	s_wait_storecnt 0x0
	global_store_b64 v[2:3], v[0:1], off scope:SCOPE_SYS
	s_and_b32 m0, s6, 0xffffff
	s_sendmsg sendmsg(MSG_INTERRUPT)
.LBB6_746:
	s_wait_alu 0xfffe
	s_or_b32 exec_lo, exec_lo, s1
	s_branch .LBB6_750
.LBB6_747:                              ;   in Loop: Header=BB6_750 Depth=1
	s_wait_alu 0xfffe
	s_or_b32 exec_lo, exec_lo, s1
	s_delay_alu instid0(VALU_DEP_1)
	v_readfirstlane_b32 s1, v0
	s_cmp_eq_u32 s1, 0
	s_cbranch_scc1 .LBB6_749
; %bb.748:                              ;   in Loop: Header=BB6_750 Depth=1
	s_sleep 1
	s_cbranch_execnz .LBB6_750
	s_branch .LBB6_752
.LBB6_749:
	s_branch .LBB6_752
.LBB6_750:                              ; =>This Inner Loop Header: Depth=1
	v_mov_b32_e32 v0, 1
	s_and_saveexec_b32 s1, s0
	s_cbranch_execz .LBB6_747
; %bb.751:                              ;   in Loop: Header=BB6_750 Depth=1
	global_load_b32 v0, v[8:9], off offset:20 scope:SCOPE_SYS
	s_wait_loadcnt 0x0
	global_inv scope:SCOPE_SYS
	v_and_b32_e32 v0, 1, v0
	s_branch .LBB6_747
.LBB6_752:
	s_and_saveexec_b32 s6, s0
	s_cbranch_execz .LBB6_756
; %bb.753:
	v_mov_b32_e32 v6, 0
	s_clause 0x2
	global_load_b64 v[0:1], v6, s[2:3] offset:40
	global_load_b64 v[9:10], v6, s[2:3] offset:24 scope:SCOPE_SYS
	global_load_b64 v[2:3], v6, s[2:3]
	s_wait_loadcnt 0x2
	v_readfirstlane_b32 s8, v0
	v_readfirstlane_b32 s9, v1
	s_add_nc_u64 s[0:1], s[8:9], 1
	s_wait_alu 0xfffe
	s_add_nc_u64 s[4:5], s[0:1], s[4:5]
	s_wait_alu 0xfffe
	s_cmp_eq_u64 s[4:5], 0
	s_cselect_b32 s1, s1, s5
	s_cselect_b32 s0, s0, s4
	s_wait_alu 0xfffe
	v_mov_b32_e32 v8, s1
	s_and_b64 s[4:5], s[0:1], s[8:9]
	v_mov_b32_e32 v7, s0
	s_wait_alu 0xfffe
	s_mul_u64 s[4:5], s[4:5], 24
	s_wait_loadcnt 0x0
	s_wait_alu 0xfffe
	v_add_co_u32 v4, vcc_lo, v2, s4
	s_wait_alu 0xfffd
	v_add_co_ci_u32_e64 v5, null, s5, v3, vcc_lo
	global_store_b64 v[4:5], v[9:10], off
	global_wb scope:SCOPE_SYS
	s_wait_storecnt 0x0
	global_atomic_cmpswap_b64 v[2:3], v6, v[7:10], s[2:3] offset:24 th:TH_ATOMIC_RETURN scope:SCOPE_SYS
	s_wait_loadcnt 0x0
	v_cmp_ne_u64_e32 vcc_lo, v[2:3], v[9:10]
	s_and_b32 exec_lo, exec_lo, vcc_lo
	s_cbranch_execz .LBB6_756
; %bb.754:
	s_mov_b32 s4, 0
.LBB6_755:                              ; =>This Inner Loop Header: Depth=1
	v_dual_mov_b32 v0, s0 :: v_dual_mov_b32 v1, s1
	s_sleep 1
	global_store_b64 v[4:5], v[2:3], off
	global_wb scope:SCOPE_SYS
	s_wait_storecnt 0x0
	global_atomic_cmpswap_b64 v[0:1], v6, v[0:3], s[2:3] offset:24 th:TH_ATOMIC_RETURN scope:SCOPE_SYS
	s_wait_loadcnt 0x0
	v_cmp_eq_u64_e32 vcc_lo, v[0:1], v[2:3]
	v_dual_mov_b32 v3, v1 :: v_dual_mov_b32 v2, v0
	s_wait_alu 0xfffe
	s_or_b32 s4, vcc_lo, s4
	s_wait_alu 0xfffe
	s_and_not1_b32 exec_lo, exec_lo, s4
	s_cbranch_execnz .LBB6_755
.LBB6_756:
	s_wait_alu 0xfffe
	s_or_b32 exec_lo, exec_lo, s6
.LBB6_757:
	s_getpc_b64 s[0:1]
	s_wait_alu 0xfffe
	s_sext_i32_i16 s1, s1
	s_add_co_u32 s0, s0, .str.29@rel32@lo+12
	s_wait_alu 0xfffe
	s_add_co_ci_u32 s1, s1, .str.29@rel32@hi+24
	s_getpc_b64 s[2:3]
	s_wait_alu 0xfffe
	s_sext_i32_i16 s3, s3
	s_add_co_u32 s2, s2, .str.19@rel32@lo+12
	s_wait_alu 0xfffe
	s_add_co_ci_u32 s3, s3, .str.19@rel32@hi+24
	s_getpc_b64 s[4:5]
	s_wait_alu 0xfffe
	s_sext_i32_i16 s5, s5
	s_add_co_u32 s4, s4, __PRETTY_FUNCTION__._ZN7VecsMemIjLi8192EE5fetchEi@rel32@lo+12
	s_wait_alu 0xfffe
	s_add_co_ci_u32 s5, s5, __PRETTY_FUNCTION__._ZN7VecsMemIjLi8192EE5fetchEi@rel32@hi+24
	s_wait_loadcnt 0x0
	v_dual_mov_b32 v0, s0 :: v_dual_mov_b32 v1, s1
	v_dual_mov_b32 v2, s2 :: v_dual_mov_b32 v3, s3
	;; [unrolled: 1-line block ×3, first 2 shown]
	s_wait_alu 0xfffe
	v_mov_b32_e32 v6, s5
	s_getpc_b64 s[6:7]
	s_wait_alu 0xfffe
	s_sext_i32_i16 s7, s7
	s_add_co_u32 s6, s6, __assert_fail@rel32@lo+12
	s_wait_alu 0xfffe
	s_add_co_ci_u32 s7, s7, __assert_fail@rel32@hi+24
	s_mov_b64 s[8:9], s[52:53]
	s_wait_alu 0xfffe
	s_swappc_b64 s[30:31], s[6:7]
	s_or_b32 s0, s17, exec_lo
.LBB6_758:
	s_or_b32 exec_lo, exec_lo, s23
	s_delay_alu instid0(SALU_CYCLE_1)
	s_and_not1_b32 s1, s17, exec_lo
	s_wait_alu 0xfffe
	s_and_b32 s0, s0, exec_lo
	s_wait_alu 0xfffe
	s_or_b32 s23, s1, s0
	s_or_not1_b32 s0, s44, exec_lo
.LBB6_759:
	s_wait_alu 0xfffe
	s_or_b32 exec_lo, exec_lo, s24
	s_mov_b32 s1, 0
                                        ; implicit-def: $vgpr41
	s_and_saveexec_b32 s44, s0
	s_cbranch_execz .LBB6_1809
; %bb.760:
	v_mov_b32_e32 v0, 0
	s_mov_b32 s1, exec_lo
	scratch_store_b64 off, v[67:68], s33 offset:144
	v_cmpx_lt_i32_e32 0, v56
	s_cbranch_execz .LBB6_768
; %bb.761:
	v_dual_mov_b32 v1, 0 :: v_dual_mov_b32 v0, 0
	v_dual_mov_b32 v2, v64 :: v_dual_mov_b32 v3, v65
	s_mov_b32 s2, 0
	s_mov_b32 s3, 0
	s_branch .LBB6_763
.LBB6_762:                              ;   in Loop: Header=BB6_763 Depth=1
	s_wait_alu 0xfffe
	s_or_b32 exec_lo, exec_lo, s0
	flat_load_b32 v4, v[54:55] offset:4
	s_add_co_i32 s3, s3, 1
	v_add_co_u32 v2, s0, v2, 4
	s_wait_alu 0xf1ff
	v_add_co_ci_u32_e64 v3, null, 0, v3, s0
	s_wait_loadcnt_dscnt 0x0
	s_wait_alu 0xfffe
	v_cmp_ge_i32_e32 vcc_lo, s3, v4
	s_or_b32 s2, vcc_lo, s2
	s_wait_alu 0xfffe
	s_and_not1_b32 exec_lo, exec_lo, s2
	s_cbranch_execz .LBB6_767
.LBB6_763:                              ; =>This Inner Loop Header: Depth=1
	flat_load_b32 v4, v[2:3]
	s_mov_b32 s0, exec_lo
	s_wait_loadcnt_dscnt 0x0
	v_cmpx_gt_i32_e32 0, v4
	s_wait_alu 0xfffe
	s_xor_b32 s0, exec_lo, s0
	s_cbranch_execz .LBB6_765
; %bb.764:                              ;   in Loop: Header=BB6_763 Depth=1
	v_and_b32_e32 v4, 0x7fffffff, v4
	flat_store_b32 v[2:3], v4
                                        ; implicit-def: $vgpr4
.LBB6_765:                              ;   in Loop: Header=BB6_763 Depth=1
	s_wait_alu 0xfffe
	s_and_not1_saveexec_b32 s0, s0
	s_cbranch_execz .LBB6_762
; %bb.766:                              ;   in Loop: Header=BB6_763 Depth=1
	v_ashrrev_i32_e32 v1, 31, v0
	s_delay_alu instid0(VALU_DEP_1) | instskip(SKIP_1) | instid1(VALU_DEP_1)
	v_lshlrev_b64_e32 v[5:6], 2, v[0:1]
	v_add_nc_u32_e32 v1, 1, v0
	v_mov_b32_e32 v0, v1
	s_delay_alu instid0(VALU_DEP_3) | instskip(SKIP_1) | instid1(VALU_DEP_4)
	v_add_co_u32 v5, vcc_lo, v67, v5
	s_wait_alu 0xfffd
	v_add_co_ci_u32_e64 v6, null, v68, v6, vcc_lo
	flat_store_b32 v[5:6], v4
	s_branch .LBB6_762
.LBB6_767:
	s_or_b32 exec_lo, exec_lo, s2
	scratch_store_b32 off, v1, s33 offset:140
.LBB6_768:
	s_wait_alu 0xfffe
	s_or_b32 exec_lo, exec_lo, s1
	s_mov_b32 s24, s23
	s_mov_b32 s0, exec_lo
	v_cmpx_ne_u32_e64 v66, v0
	s_wait_alu 0xfffe
	s_xor_b32 s45, exec_lo, s0
	s_cbranch_execz .LBB6_770
; %bb.769:
	s_getpc_b64 s[0:1]
	s_wait_alu 0xfffe
	s_sext_i32_i16 s1, s1
	s_add_co_u32 s0, s0, .str.40@rel32@lo+12
	s_wait_alu 0xfffe
	s_add_co_ci_u32 s1, s1, .str.40@rel32@hi+24
	s_getpc_b64 s[2:3]
	s_wait_alu 0xfffe
	s_sext_i32_i16 s3, s3
	s_add_co_u32 s2, s2, .str.31@rel32@lo+12
	s_wait_alu 0xfffe
	s_add_co_ci_u32 s3, s3, .str.31@rel32@hi+24
	s_getpc_b64 s[4:5]
	s_wait_alu 0xfffe
	s_sext_i32_i16 s5, s5
	s_add_co_u32 s4, s4, __PRETTY_FUNCTION__._ZN3sop17sopDivideInternalEPNS_3SopES1_S1_S1_P7VecsMemIjLi8192EE@rel32@lo+12
	s_wait_alu 0xfffe
	s_add_co_ci_u32 s5, s5, __PRETTY_FUNCTION__._ZN3sop17sopDivideInternalEPNS_3SopES1_S1_S1_P7VecsMemIjLi8192EE@rel32@hi+24
	v_dual_mov_b32 v0, s0 :: v_dual_mov_b32 v1, s1
	v_dual_mov_b32 v2, s2 :: v_dual_mov_b32 v3, s3
	;; [unrolled: 1-line block ×3, first 2 shown]
	s_wait_alu 0xfffe
	v_mov_b32_e32 v6, s5
	s_getpc_b64 s[6:7]
	s_wait_alu 0xfffe
	s_sext_i32_i16 s7, s7
	s_add_co_u32 s6, s6, __assert_fail@rel32@lo+12
	s_wait_alu 0xfffe
	s_add_co_ci_u32 s7, s7, __assert_fail@rel32@hi+24
	s_mov_b64 s[8:9], s[52:53]
	s_wait_alu 0xfffc
	s_swappc_b64 s[30:31], s[6:7]
	s_or_b32 s24, s23, exec_lo
                                        ; implicit-def: $vgpr69_vgpr70
                                        ; implicit-def: $vgpr71
                                        ; implicit-def: $vgpr64_vgpr65
                                        ; implicit-def: $vgpr44_vgpr45
                                        ; implicit-def: $vgpr42_vgpr43
                                        ; implicit-def: $vgpr47
                                        ; implicit-def: $vgpr54_vgpr55
.LBB6_770:
	s_wait_alu 0xfffe
	s_or_saveexec_b32 s45, s45
	s_mov_b32 s0, 0
                                        ; implicit-def: $vgpr41
	s_wait_alu 0xfffe
	s_xor_b32 exec_lo, exec_lo, s45
	s_cbranch_execz .LBB6_1808
; %bb.771:
	s_mov_b32 s1, s24
	s_mov_b32 s0, exec_lo
	v_cmpx_gt_i32_e32 1, v80
	s_wait_alu 0xfffe
	s_xor_b32 s46, exec_lo, s0
	s_cbranch_execz .LBB6_773
; %bb.772:
	s_getpc_b64 s[0:1]
	s_wait_alu 0xfffe
	s_sext_i32_i16 s1, s1
	s_add_co_u32 s0, s0, .str.33@rel32@lo+12
	s_wait_alu 0xfffe
	s_add_co_ci_u32 s1, s1, .str.33@rel32@hi+24
	s_getpc_b64 s[2:3]
	s_wait_alu 0xfffe
	s_sext_i32_i16 s3, s3
	s_add_co_u32 s2, s2, .str.31@rel32@lo+12
	s_wait_alu 0xfffe
	s_add_co_ci_u32 s3, s3, .str.31@rel32@hi+24
	s_getpc_b64 s[4:5]
	s_wait_alu 0xfffe
	s_sext_i32_i16 s5, s5
	s_add_co_u32 s4, s4, __PRETTY_FUNCTION__._ZN3sop18sopCommonCubeCoverEPNS_3SopES1_P7VecsMemIjLi8192EE@rel32@lo+12
	s_wait_alu 0xfffe
	s_add_co_ci_u32 s5, s5, __PRETTY_FUNCTION__._ZN3sop18sopCommonCubeCoverEPNS_3SopES1_P7VecsMemIjLi8192EE@rel32@hi+24
	v_dual_mov_b32 v0, s0 :: v_dual_mov_b32 v1, s1
	v_dual_mov_b32 v2, s2 :: v_dual_mov_b32 v3, s3
	;; [unrolled: 1-line block ×3, first 2 shown]
	s_wait_alu 0xfffe
	v_mov_b32_e32 v6, s5
	s_getpc_b64 s[6:7]
	s_wait_alu 0xfffe
	s_sext_i32_i16 s7, s7
	s_add_co_u32 s6, s6, __assert_fail@rel32@lo+12
	s_wait_alu 0xfffe
	s_add_co_ci_u32 s7, s7, __assert_fail@rel32@hi+24
	s_mov_b64 s[8:9], s[52:53]
	s_wait_alu 0xfffc
	s_swappc_b64 s[30:31], s[6:7]
	s_or_b32 s1, s24, exec_lo
                                        ; implicit-def: $vgpr69_vgpr70
                                        ; implicit-def: $vgpr71
                                        ; implicit-def: $vgpr64_vgpr65
                                        ; implicit-def: $vgpr44_vgpr45
                                        ; implicit-def: $vgpr42_vgpr43
                                        ; implicit-def: $vgpr47
                                        ; implicit-def: $vgpr54_vgpr55
.LBB6_773:
	s_wait_alu 0xfffe
	s_or_saveexec_b32 s0, s46
	s_mov_b32 s2, 0
                                        ; implicit-def: $vgpr41
	s_wait_alu 0xfffe
	s_xor_b32 exec_lo, exec_lo, s0
	s_cbranch_execz .LBB6_1807
; %bb.774:
	v_dual_mov_b32 v0, v69 :: v_dual_mov_b32 v3, v80
	v_dual_mov_b32 v2, -1 :: v_dual_mov_b32 v1, v70
	v_writelane_b32 v59, s0, 1
.LBB6_775:                              ; =>This Inner Loop Header: Depth=1
	flat_load_b32 v4, v[0:1]
	v_add_nc_u32_e32 v3, -1, v3
	v_add_co_u32 v0, vcc_lo, v0, 4
	s_wait_alu 0xfffd
	v_add_co_ci_u32_e64 v1, null, 0, v1, vcc_lo
	s_delay_alu instid0(VALU_DEP_3)
	v_cmp_eq_u32_e64 s0, 0, v3
	s_or_b32 s2, s0, s2
	s_wait_loadcnt_dscnt 0x0
	v_and_b32_e32 v2, v4, v2
	s_wait_alu 0xfffe
	s_and_not1_b32 exec_lo, exec_lo, s2
	s_cbranch_execnz .LBB6_775
; %bb.776:
	s_or_b32 exec_lo, exec_lo, s2
	v_cmp_ne_u32_e32 vcc_lo, 0, v2
	s_mov_b32 s36, 0
	s_mov_b32 s34, s1
                                        ; implicit-def: $vgpr41
	s_and_saveexec_b32 s0, vcc_lo
	v_writelane_b32 v59, s22, 8
	s_wait_alu 0xfffe
	s_xor_b32 s0, exec_lo, s0
	v_writelane_b32 v59, s25, 6
	v_writelane_b32 v59, s19, 4
	;; [unrolled: 1-line block ×12, first 2 shown]
	s_cbranch_execz .LBB6_1596
; %bb.777:
	flat_load_b32 v0, v[44:45]
	s_wait_alu 0xfffe
	v_writelane_b32 v59, s0, 19
	s_mov_b32 s17, 0
	s_mov_b32 s0, exec_lo
                                        ; implicit-def: $vgpr41
	v_writelane_b32 v59, s43, 18
	v_writelane_b32 v59, s27, 3
	;; [unrolled: 1-line block ×4, first 2 shown]
	s_mov_b32 s18, s1
	v_writelane_b32 v59, s20, 10
	v_writelane_b32 v59, s28, 20
	s_wait_loadcnt_dscnt 0x0
	v_cmpx_gt_i32_e32 0x2000, v0
	s_wait_alu 0xfffe
	s_xor_b32 s0, exec_lo, s0
	s_cbranch_execz .LBB6_1452
; %bb.778:
	v_dual_mov_b32 v2, -1 :: v_dual_add_nc_u32 v1, 1, v0
	s_mov_b32 s1, 0
	s_wait_alu 0xfffe
	v_writelane_b32 v59, s0, 21
	flat_store_b32 v[44:45], v1
.LBB6_779:                              ; =>This Inner Loop Header: Depth=1
	flat_load_b32 v1, v[69:70]
	v_add_nc_u32_e32 v80, -1, v80
	v_add_co_u32 v69, vcc_lo, v69, 4
	s_wait_alu 0xfffd
	v_add_co_ci_u32_e64 v70, null, 0, v70, vcc_lo
	s_delay_alu instid0(VALU_DEP_3)
	v_cmp_eq_u32_e64 s0, 0, v80
	s_or_b32 s1, s0, s1
	s_wait_loadcnt_dscnt 0x0
	v_and_b32_e32 v2, v1, v2
	s_wait_alu 0xfffe
	s_and_not1_b32 exec_lo, exec_lo, s1
	s_cbranch_execnz .LBB6_779
; %bb.780:
	s_or_b32 exec_lo, exec_lo, s1
	v_ashrrev_i32_e32 v1, 31, v0
	v_mov_b32_e32 v3, -1
	s_delay_alu instid0(VALU_DEP_2) | instskip(NEXT) | instid1(VALU_DEP_1)
	v_lshlrev_b64_e32 v[0:1], 2, v[0:1]
	v_add_co_u32 v0, vcc_lo, v44, v0
	s_wait_alu 0xfffd
	s_delay_alu instid0(VALU_DEP_2)
	v_add_co_ci_u32_e64 v1, null, v45, v1, vcc_lo
	flat_store_b32 v[0:1], v2 offset:4
	s_mov_b32 s1, exec_lo
	v_readlane_b32 s0, v59, 20
	s_wait_alu 0xfffe
	s_and_b32 s0, s1, s0
	s_wait_alu 0xfffe
	s_mov_b32 exec_lo, s0
	s_cbranch_execz .LBB6_790
; %bb.781:
	v_dual_mov_b32 v3, -1 :: v_dual_mov_b32 v4, -1
	s_mov_b32 s2, 0
	s_mov_b32 s3, 0
	s_branch .LBB6_784
.LBB6_782:                              ;   in Loop: Header=BB6_784 Depth=1
	s_wait_alu 0xfffe
	s_or_b32 exec_lo, exec_lo, s5
	v_cmp_lt_u32_e32 vcc_lo, 1, v5
	v_cmp_lt_i32_e64 s0, v3, v5
	s_and_b32 vcc_lo, vcc_lo, s0
	s_wait_alu 0xfffe
	v_cndmask_b32_e64 v4, v4, s3, vcc_lo
	v_cndmask_b32_e32 v3, v3, v5, vcc_lo
.LBB6_783:                              ;   in Loop: Header=BB6_784 Depth=1
	s_wait_alu 0xfffe
	s_or_b32 exec_lo, exec_lo, s4
	s_add_co_i32 s3, s3, 1
	s_wait_alu 0xfffe
	v_cmp_eq_u32_e32 vcc_lo, s3, v47
	s_or_b32 s2, vcc_lo, s2
	s_wait_alu 0xfffe
	s_and_not1_b32 exec_lo, exec_lo, s2
	s_cbranch_execz .LBB6_789
.LBB6_784:                              ; =>This Loop Header: Depth=1
                                        ;     Child Loop BB6_787 Depth 2
	s_wait_alu 0xfffe
	v_lshrrev_b32_e32 v0, s3, v2
	s_mov_b32 s4, exec_lo
	s_delay_alu instid0(VALU_DEP_1) | instskip(NEXT) | instid1(VALU_DEP_1)
	v_and_b32_e32 v0, 1, v0
	v_cmpx_eq_u32_e32 1, v0
	s_cbranch_execz .LBB6_783
; %bb.785:                              ;   in Loop: Header=BB6_784 Depth=1
	flat_load_b32 v6, v[54:55] offset:4
	v_mov_b32_e32 v5, 0
	s_mov_b32 s5, exec_lo
	s_wait_loadcnt_dscnt 0x0
	v_cmpx_lt_i32_e32 0, v6
	s_cbranch_execz .LBB6_782
; %bb.786:                              ;   in Loop: Header=BB6_784 Depth=1
	v_dual_mov_b32 v5, 0 :: v_dual_mov_b32 v0, v64
	v_mov_b32_e32 v1, v65
	s_mov_b32 s6, 0
.LBB6_787:                              ;   Parent Loop BB6_784 Depth=1
                                        ; =>  This Inner Loop Header: Depth=2
	flat_load_b32 v7, v[0:1]
	v_add_nc_u32_e32 v6, -1, v6
	v_add_co_u32 v0, vcc_lo, v0, 4
	s_wait_alu 0xfffd
	v_add_co_ci_u32_e64 v1, null, 0, v1, vcc_lo
	s_delay_alu instid0(VALU_DEP_3) | instskip(SKIP_4) | instid1(VALU_DEP_1)
	v_cmp_eq_u32_e64 s0, 0, v6
	s_wait_alu 0xfffe
	s_or_b32 s6, s0, s6
	s_wait_loadcnt_dscnt 0x0
	v_bfe_u32 v7, v7, s3, 1
	v_add_nc_u32_e32 v5, v7, v5
	s_wait_alu 0xfffe
	s_and_not1_b32 exec_lo, exec_lo, s6
	s_cbranch_execnz .LBB6_787
; %bb.788:                              ;   in Loop: Header=BB6_784 Depth=1
	s_or_b32 exec_lo, exec_lo, s6
	s_branch .LBB6_782
.LBB6_789:
	s_or_b32 exec_lo, exec_lo, s2
	v_cmp_lt_i32_e32 vcc_lo, -1, v3
	s_wait_alu 0xfffd
	v_cndmask_b32_e32 v3, -1, v4, vcc_lo
.LBB6_790:
	s_or_b32 exec_lo, exec_lo, s1
	flat_load_b32 v0, v[44:45]
	v_readlane_b32 s18, v59, 0
	s_mov_b32 s17, 0
                                        ; implicit-def: $vgpr41
	s_mov_b32 s0, exec_lo
	s_wait_loadcnt_dscnt 0x0
	v_cmpx_gt_i32_e32 0x2000, v0
	s_wait_alu 0xfffe
	s_xor_b32 s49, exec_lo, s0
	s_cbranch_execz .LBB6_1308
; %bb.791:
	v_ashrrev_i32_e32 v1, 31, v0
	v_lshlrev_b32_e64 v82, v3, 1
	v_mov_b32_e32 v68, 0
	v_readlane_b32 s67, v59, 0
	s_mov_b32 s0, -1
	v_lshlrev_b64_e32 v[1:2], 2, v[0:1]
	v_dual_mov_b32 v69, 0 :: v_dual_add_nc_u32 v0, 1, v0
	s_delay_alu instid0(VALU_DEP_2) | instskip(SKIP_1) | instid1(VALU_DEP_3)
	v_add_co_u32 v66, vcc_lo, v44, v1
	s_wait_alu 0xfffd
	v_add_co_ci_u32_e64 v67, null, v45, v2, vcc_lo
	s_clause 0x1
	flat_store_b32 v[44:45], v0
	flat_store_b32 v[66:67], v82 offset:4
	flat_load_b32 v70, v[54:55] offset:4
	v_mov_b32_e32 v0, 0
	scratch_store_b32 off, v0, s33 offset:44
	s_wait_loadcnt_dscnt 0x0
	v_cmp_lt_i32_e64 s17, 0, v70
	s_and_saveexec_b32 s18, s17
	s_cbranch_execz .LBB6_938
; %bb.792:
	flat_load_b32 v0, v[44:45]
	v_mov_b32_e32 v68, 0
	s_mov_b32 s19, 0
	s_mov_b32 s0, exec_lo
	s_wait_loadcnt_dscnt 0x0
	v_dual_mov_b32 v69, 0 :: v_dual_add_nc_u32 v0, v0, v70
	s_delay_alu instid0(VALU_DEP_1)
	v_cmpx_gt_i32_e32 0x2001, v0
	s_wait_alu 0xfffe
	s_xor_b32 s0, exec_lo, s0
	s_cbranch_execz .LBB6_794
; %bb.793:
	v_ashrrev_i32_e32 v1, 31, v0
	v_mov_b32_e32 v71, 0
	s_mov_b32 s19, exec_lo
	flat_store_b32 v[44:45], v0
	v_lshlrev_b64_e32 v[1:2], 2, v[0:1]
	v_lshlrev_b64_e32 v[3:4], 2, v[70:71]
	s_delay_alu instid0(VALU_DEP_2) | instskip(SKIP_1) | instid1(VALU_DEP_3)
	v_add_co_u32 v1, vcc_lo, v44, v1
	s_wait_alu 0xfffd
	v_add_co_ci_u32_e64 v2, null, v45, v2, vcc_lo
	s_delay_alu instid0(VALU_DEP_2) | instskip(SKIP_1) | instid1(VALU_DEP_2)
	v_sub_co_u32 v1, vcc_lo, v1, v3
	s_wait_alu 0xfffd
	v_sub_co_ci_u32_e64 v2, null, v2, v4, vcc_lo
	s_delay_alu instid0(VALU_DEP_2) | instskip(SKIP_1) | instid1(VALU_DEP_2)
	v_add_co_u32 v68, vcc_lo, v1, 4
	s_wait_alu 0xfffd
	v_add_co_ci_u32_e64 v69, null, 0, v2, vcc_lo
.LBB6_794:
	s_wait_alu 0xfffe
	s_or_saveexec_b32 s20, s0
	v_readlane_b32 s0, v59, 0
	s_wait_alu 0xfffe
	s_xor_b32 exec_lo, exec_lo, s20
	s_cbranch_execz .LBB6_937
; %bb.795:
	s_load_b64 s[2:3], s[52:53], 0x50
	v_mbcnt_lo_u32_b32 v31, -1, 0
	v_mov_b32_e32 v6, 0
	v_mov_b32_e32 v7, 0
	s_delay_alu instid0(VALU_DEP_3) | instskip(SKIP_1) | instid1(VALU_DEP_1)
	v_readfirstlane_b32 s0, v31
	s_wait_alu 0xf1ff
	v_cmp_eq_u32_e64 s0, s0, v31
	s_and_saveexec_b32 s1, s0
	s_cbranch_execz .LBB6_801
; %bb.796:
	v_mov_b32_e32 v0, 0
	s_mov_b32 s4, exec_lo
	s_wait_kmcnt 0x0
	global_load_b64 v[3:4], v0, s[2:3] offset:24 scope:SCOPE_SYS
	s_wait_loadcnt 0x0
	global_inv scope:SCOPE_SYS
	s_clause 0x1
	global_load_b64 v[1:2], v0, s[2:3] offset:40
	global_load_b64 v[5:6], v0, s[2:3]
	s_wait_loadcnt 0x1
	v_and_b32_e32 v2, v2, v4
	v_and_b32_e32 v1, v1, v3
	s_delay_alu instid0(VALU_DEP_2) | instskip(NEXT) | instid1(VALU_DEP_2)
	v_mul_lo_u32 v2, 24, v2
	v_mul_lo_u32 v7, 0, v1
	v_mul_hi_u32 v8, 24, v1
	v_mul_lo_u32 v1, 24, v1
	s_delay_alu instid0(VALU_DEP_3) | instskip(SKIP_1) | instid1(VALU_DEP_2)
	v_add_nc_u32_e32 v2, v2, v7
	s_wait_loadcnt 0x0
	v_add_co_u32 v1, vcc_lo, v5, v1
	s_delay_alu instid0(VALU_DEP_2) | instskip(SKIP_1) | instid1(VALU_DEP_1)
	v_add_nc_u32_e32 v2, v2, v8
	s_wait_alu 0xfffd
	v_add_co_ci_u32_e64 v2, null, v6, v2, vcc_lo
	global_load_b64 v[1:2], v[1:2], off scope:SCOPE_SYS
	s_wait_loadcnt 0x0
	global_atomic_cmpswap_b64 v[6:7], v0, v[1:4], s[2:3] offset:24 th:TH_ATOMIC_RETURN scope:SCOPE_SYS
	s_wait_loadcnt 0x0
	global_inv scope:SCOPE_SYS
	v_cmpx_ne_u64_e64 v[6:7], v[3:4]
	s_cbranch_execz .LBB6_800
; %bb.797:
	s_mov_b32 s5, 0
.LBB6_798:                              ; =>This Inner Loop Header: Depth=1
	s_sleep 1
	s_clause 0x1
	global_load_b64 v[1:2], v0, s[2:3] offset:40
	global_load_b64 v[8:9], v0, s[2:3]
	v_dual_mov_b32 v3, v6 :: v_dual_mov_b32 v4, v7
	s_wait_loadcnt 0x1
	s_delay_alu instid0(VALU_DEP_1) | instskip(NEXT) | instid1(VALU_DEP_2)
	v_and_b32_e32 v1, v1, v3
	v_and_b32_e32 v2, v2, v4
	s_wait_loadcnt 0x0
	s_delay_alu instid0(VALU_DEP_2) | instskip(NEXT) | instid1(VALU_DEP_1)
	v_mad_co_u64_u32 v[5:6], null, v1, 24, v[8:9]
	v_mov_b32_e32 v1, v6
	s_delay_alu instid0(VALU_DEP_1) | instskip(NEXT) | instid1(VALU_DEP_1)
	v_mad_co_u64_u32 v[1:2], null, v2, 24, v[1:2]
	v_mov_b32_e32 v6, v1
	global_load_b64 v[1:2], v[5:6], off scope:SCOPE_SYS
	s_wait_loadcnt 0x0
	global_atomic_cmpswap_b64 v[6:7], v0, v[1:4], s[2:3] offset:24 th:TH_ATOMIC_RETURN scope:SCOPE_SYS
	s_wait_loadcnt 0x0
	global_inv scope:SCOPE_SYS
	v_cmp_eq_u64_e32 vcc_lo, v[6:7], v[3:4]
	s_wait_alu 0xfffe
	s_or_b32 s5, vcc_lo, s5
	s_wait_alu 0xfffe
	s_and_not1_b32 exec_lo, exec_lo, s5
	s_cbranch_execnz .LBB6_798
; %bb.799:
	s_or_b32 exec_lo, exec_lo, s5
.LBB6_800:
	s_wait_alu 0xfffe
	s_or_b32 exec_lo, exec_lo, s4
.LBB6_801:
	s_wait_alu 0xfffe
	s_or_b32 exec_lo, exec_lo, s1
	v_readfirstlane_b32 s4, v6
	v_mov_b32_e32 v5, 0
	v_readfirstlane_b32 s5, v7
	s_mov_b32 s1, exec_lo
	s_wait_kmcnt 0x0
	s_clause 0x1
	global_load_b64 v[8:9], v5, s[2:3] offset:40
	global_load_b128 v[0:3], v5, s[2:3]
	s_wait_loadcnt 0x1
	s_wait_alu 0xf1ff
	v_and_b32_e32 v11, s5, v9
	v_and_b32_e32 v10, s4, v8
	s_delay_alu instid0(VALU_DEP_2) | instskip(NEXT) | instid1(VALU_DEP_2)
	v_mul_lo_u32 v4, 24, v11
	v_mul_lo_u32 v6, 0, v10
	v_mul_hi_u32 v7, 24, v10
	v_mul_lo_u32 v8, 24, v10
	s_delay_alu instid0(VALU_DEP_3) | instskip(SKIP_1) | instid1(VALU_DEP_2)
	v_add_nc_u32_e32 v4, v4, v6
	s_wait_loadcnt 0x0
	v_add_co_u32 v8, vcc_lo, v0, v8
	s_delay_alu instid0(VALU_DEP_2) | instskip(SKIP_1) | instid1(VALU_DEP_1)
	v_add_nc_u32_e32 v4, v4, v7
	s_wait_alu 0xfffd
	v_add_co_ci_u32_e64 v9, null, v1, v4, vcc_lo
	s_and_saveexec_b32 s6, s0
	s_cbranch_execz .LBB6_803
; %bb.802:
	s_wait_alu 0xfffe
	v_dual_mov_b32 v4, s1 :: v_dual_mov_b32 v7, 1
	v_mov_b32_e32 v6, 2
	global_store_b128 v[8:9], v[4:7], off offset:8
.LBB6_803:
	s_wait_alu 0xfffe
	s_or_b32 exec_lo, exec_lo, s6
	v_lshlrev_b64_e32 v[10:11], 12, v[10:11]
	v_dual_mov_b32 v7, v5 :: v_dual_lshlrev_b32 v30, 6, v31
	s_mov_b32 s8, 0
	s_wait_alu 0xfffe
	s_mov_b32 s11, s8
	s_delay_alu instid0(VALU_DEP_2)
	v_add_co_u32 v2, vcc_lo, v2, v10
	s_wait_alu 0xfffd
	v_add_co_ci_u32_e64 v3, null, v3, v11, vcc_lo
	s_mov_b32 s9, s8
	v_add_co_u32 v10, vcc_lo, v2, v30
	s_mov_b32 s10, s8
	s_wait_alu 0xfffe
	v_dual_mov_b32 v4, 33 :: v_dual_mov_b32 v15, s11
	v_dual_mov_b32 v6, v5 :: v_dual_mov_b32 v13, s9
	v_readfirstlane_b32 s6, v2
	v_readfirstlane_b32 s7, v3
	s_wait_alu 0xfffd
	v_add_co_ci_u32_e64 v11, null, 0, v3, vcc_lo
	v_mov_b32_e32 v14, s10
	v_mov_b32_e32 v12, s8
	s_clause 0x3
	global_store_b128 v30, v[4:7], s[6:7]
	global_store_b128 v30, v[12:15], s[6:7] offset:16
	global_store_b128 v30, v[12:15], s[6:7] offset:32
	;; [unrolled: 1-line block ×3, first 2 shown]
	s_and_saveexec_b32 s1, s0
	s_cbranch_execz .LBB6_811
; %bb.804:
	v_mov_b32_e32 v6, 0
	s_mov_b32 s6, exec_lo
	s_clause 0x1
	global_load_b64 v[14:15], v6, s[2:3] offset:32 scope:SCOPE_SYS
	global_load_b64 v[2:3], v6, s[2:3] offset:40
	v_dual_mov_b32 v13, s5 :: v_dual_mov_b32 v12, s4
	s_wait_loadcnt 0x0
	v_and_b32_e32 v3, s5, v3
	v_and_b32_e32 v2, s4, v2
	s_delay_alu instid0(VALU_DEP_2) | instskip(NEXT) | instid1(VALU_DEP_2)
	v_mul_lo_u32 v3, 24, v3
	v_mul_lo_u32 v4, 0, v2
	v_mul_hi_u32 v5, 24, v2
	v_mul_lo_u32 v2, 24, v2
	s_delay_alu instid0(VALU_DEP_3) | instskip(NEXT) | instid1(VALU_DEP_2)
	v_add_nc_u32_e32 v3, v3, v4
	v_add_co_u32 v4, vcc_lo, v0, v2
	s_delay_alu instid0(VALU_DEP_2) | instskip(SKIP_1) | instid1(VALU_DEP_1)
	v_add_nc_u32_e32 v3, v3, v5
	s_wait_alu 0xfffd
	v_add_co_ci_u32_e64 v5, null, v1, v3, vcc_lo
	global_store_b64 v[4:5], v[14:15], off
	global_wb scope:SCOPE_SYS
	s_wait_storecnt 0x0
	global_atomic_cmpswap_b64 v[2:3], v6, v[12:15], s[2:3] offset:32 th:TH_ATOMIC_RETURN scope:SCOPE_SYS
	s_wait_loadcnt 0x0
	v_cmpx_ne_u64_e64 v[2:3], v[14:15]
	s_cbranch_execz .LBB6_807
; %bb.805:
	s_mov_b32 s7, 0
.LBB6_806:                              ; =>This Inner Loop Header: Depth=1
	v_dual_mov_b32 v0, s4 :: v_dual_mov_b32 v1, s5
	s_sleep 1
	global_store_b64 v[4:5], v[2:3], off
	global_wb scope:SCOPE_SYS
	s_wait_storecnt 0x0
	global_atomic_cmpswap_b64 v[0:1], v6, v[0:3], s[2:3] offset:32 th:TH_ATOMIC_RETURN scope:SCOPE_SYS
	s_wait_loadcnt 0x0
	v_cmp_eq_u64_e32 vcc_lo, v[0:1], v[2:3]
	v_dual_mov_b32 v3, v1 :: v_dual_mov_b32 v2, v0
	s_wait_alu 0xfffe
	s_or_b32 s7, vcc_lo, s7
	s_wait_alu 0xfffe
	s_and_not1_b32 exec_lo, exec_lo, s7
	s_cbranch_execnz .LBB6_806
.LBB6_807:
	s_wait_alu 0xfffe
	s_or_b32 exec_lo, exec_lo, s6
	v_mov_b32_e32 v3, 0
	s_mov_b32 s7, exec_lo
	s_mov_b32 s6, exec_lo
	s_wait_alu 0xfffe
	v_mbcnt_lo_u32_b32 v2, s7, 0
	global_load_b64 v[0:1], v3, s[2:3] offset:16
	v_cmpx_eq_u32_e32 0, v2
	s_cbranch_execz .LBB6_809
; %bb.808:
	s_bcnt1_i32_b32 s7, s7
	s_wait_alu 0xfffe
	v_mov_b32_e32 v2, s7
	global_wb scope:SCOPE_SYS
	s_wait_loadcnt 0x0
	s_wait_storecnt 0x0
	global_atomic_add_u64 v[0:1], v[2:3], off offset:8 scope:SCOPE_SYS
.LBB6_809:
	s_or_b32 exec_lo, exec_lo, s6
	s_wait_loadcnt 0x0
	global_load_b64 v[2:3], v[0:1], off offset:16
	s_wait_loadcnt 0x0
	v_cmp_eq_u64_e32 vcc_lo, 0, v[2:3]
	s_cbranch_vccnz .LBB6_811
; %bb.810:
	global_load_b32 v0, v[0:1], off offset:24
	v_mov_b32_e32 v1, 0
	s_wait_loadcnt 0x0
	v_readfirstlane_b32 s6, v0
	global_wb scope:SCOPE_SYS
	s_wait_storecnt 0x0
	global_store_b64 v[2:3], v[0:1], off scope:SCOPE_SYS
	s_and_b32 m0, s6, 0xffffff
	s_sendmsg sendmsg(MSG_INTERRUPT)
.LBB6_811:
	s_wait_alu 0xfffe
	s_or_b32 exec_lo, exec_lo, s1
	s_branch .LBB6_815
.LBB6_812:                              ;   in Loop: Header=BB6_815 Depth=1
	s_wait_alu 0xfffe
	s_or_b32 exec_lo, exec_lo, s1
	s_delay_alu instid0(VALU_DEP_1)
	v_readfirstlane_b32 s1, v0
	s_cmp_eq_u32 s1, 0
	s_cbranch_scc1 .LBB6_814
; %bb.813:                              ;   in Loop: Header=BB6_815 Depth=1
	s_sleep 1
	s_cbranch_execnz .LBB6_815
	s_branch .LBB6_817
.LBB6_814:
	s_branch .LBB6_817
.LBB6_815:                              ; =>This Inner Loop Header: Depth=1
	v_mov_b32_e32 v0, 1
	s_and_saveexec_b32 s1, s0
	s_cbranch_execz .LBB6_812
; %bb.816:                              ;   in Loop: Header=BB6_815 Depth=1
	global_load_b32 v0, v[8:9], off offset:20 scope:SCOPE_SYS
	s_wait_loadcnt 0x0
	global_inv scope:SCOPE_SYS
	v_and_b32_e32 v0, 1, v0
	s_branch .LBB6_812
.LBB6_817:
	global_load_b64 v[0:1], v[10:11], off
	s_and_saveexec_b32 s6, s0
	s_cbranch_execz .LBB6_821
; %bb.818:
	v_mov_b32_e32 v8, 0
	s_clause 0x2
	global_load_b64 v[2:3], v8, s[2:3] offset:40
	global_load_b64 v[11:12], v8, s[2:3] offset:24 scope:SCOPE_SYS
	global_load_b64 v[4:5], v8, s[2:3]
	s_wait_loadcnt 0x2
	v_readfirstlane_b32 s8, v2
	v_readfirstlane_b32 s9, v3
	s_add_nc_u64 s[0:1], s[8:9], 1
	s_wait_alu 0xfffe
	s_add_nc_u64 s[4:5], s[0:1], s[4:5]
	s_wait_alu 0xfffe
	s_cmp_eq_u64 s[4:5], 0
	s_cselect_b32 s1, s1, s5
	s_cselect_b32 s0, s0, s4
	s_wait_alu 0xfffe
	v_mov_b32_e32 v10, s1
	s_and_b64 s[4:5], s[0:1], s[8:9]
	v_mov_b32_e32 v9, s0
	s_wait_alu 0xfffe
	s_mul_u64 s[4:5], s[4:5], 24
	s_wait_loadcnt 0x0
	s_wait_alu 0xfffe
	v_add_co_u32 v6, vcc_lo, v4, s4
	s_wait_alu 0xfffd
	v_add_co_ci_u32_e64 v7, null, s5, v5, vcc_lo
	global_store_b64 v[6:7], v[11:12], off
	global_wb scope:SCOPE_SYS
	s_wait_storecnt 0x0
	global_atomic_cmpswap_b64 v[4:5], v8, v[9:12], s[2:3] offset:24 th:TH_ATOMIC_RETURN scope:SCOPE_SYS
	s_wait_loadcnt 0x0
	v_cmp_ne_u64_e32 vcc_lo, v[4:5], v[11:12]
	s_and_b32 exec_lo, exec_lo, vcc_lo
	s_cbranch_execz .LBB6_821
; %bb.819:
	s_mov_b32 s4, 0
.LBB6_820:                              ; =>This Inner Loop Header: Depth=1
	v_dual_mov_b32 v2, s0 :: v_dual_mov_b32 v3, s1
	s_sleep 1
	global_store_b64 v[6:7], v[4:5], off
	global_wb scope:SCOPE_SYS
	s_wait_storecnt 0x0
	global_atomic_cmpswap_b64 v[2:3], v8, v[2:5], s[2:3] offset:24 th:TH_ATOMIC_RETURN scope:SCOPE_SYS
	s_wait_loadcnt 0x0
	v_cmp_eq_u64_e32 vcc_lo, v[2:3], v[4:5]
	v_dual_mov_b32 v5, v3 :: v_dual_mov_b32 v4, v2
	s_wait_alu 0xfffe
	s_or_b32 s4, vcc_lo, s4
	s_wait_alu 0xfffe
	s_and_not1_b32 exec_lo, exec_lo, s4
	s_cbranch_execnz .LBB6_820
.LBB6_821:
	s_wait_alu 0xfffe
	s_or_b32 exec_lo, exec_lo, s6
	s_getpc_b64 s[4:5]
	s_wait_alu 0xfffe
	s_sext_i32_i16 s5, s5
	s_add_co_u32 s4, s4, .str.28@rel32@lo+12
	s_wait_alu 0xfffe
	s_add_co_ci_u32 s5, s5, .str.28@rel32@hi+24
	s_wait_alu 0xfffe
	s_cmp_lg_u64 s[4:5], 0
	s_cbranch_scc0 .LBB6_907
; %bb.822:
	s_wait_loadcnt 0x0
	v_dual_mov_b32 v7, v1 :: v_dual_and_b32 v6, -3, v0
	v_dual_mov_b32 v3, 0 :: v_dual_mov_b32 v4, 2
	v_mov_b32_e32 v5, 1
	s_mov_b64 s[6:7], 35
	s_branch .LBB6_824
.LBB6_823:                              ;   in Loop: Header=BB6_824 Depth=1
	s_wait_alu 0xfffe
	s_or_b32 exec_lo, exec_lo, s12
	s_sub_nc_u64 s[6:7], s[6:7], s[8:9]
	s_add_nc_u64 s[4:5], s[4:5], s[8:9]
	s_wait_alu 0xfffe
	s_cmp_lg_u64 s[6:7], 0
	s_cbranch_scc0 .LBB6_906
.LBB6_824:                              ; =>This Loop Header: Depth=1
                                        ;     Child Loop BB6_827 Depth 2
                                        ;     Child Loop BB6_835 Depth 2
	;; [unrolled: 1-line block ×11, first 2 shown]
	s_wait_alu 0xfffe
	v_cmp_lt_u64_e64 s0, s[6:7], 56
	v_cmp_gt_u64_e64 s1, s[6:7], 7
	s_and_b32 s0, s0, exec_lo
	s_cselect_b32 s9, s7, 0
	s_cselect_b32 s8, s6, 56
	s_and_b32 vcc_lo, exec_lo, s1
	s_wait_alu 0xfffe
	s_cbranch_vccnz .LBB6_829
; %bb.825:                              ;   in Loop: Header=BB6_824 Depth=1
	s_wait_loadcnt 0x0
	v_mov_b32_e32 v8, 0
	v_mov_b32_e32 v9, 0
	s_cmp_eq_u64 s[6:7], 0
	s_cbranch_scc1 .LBB6_828
; %bb.826:                              ;   in Loop: Header=BB6_824 Depth=1
	s_mov_b64 s[0:1], 0
	s_mov_b64 s[10:11], 0
.LBB6_827:                              ;   Parent Loop BB6_824 Depth=1
                                        ; =>  This Inner Loop Header: Depth=2
	s_wait_alu 0xfffe
	s_add_nc_u64 s[12:13], s[4:5], s[10:11]
	s_add_nc_u64 s[10:11], s[10:11], 1
	global_load_u8 v2, v3, s[12:13]
	s_wait_alu 0xfffe
	s_cmp_lg_u32 s8, s10
	s_wait_loadcnt 0x0
	v_and_b32_e32 v2, 0xffff, v2
	s_delay_alu instid0(VALU_DEP_1) | instskip(SKIP_1) | instid1(VALU_DEP_1)
	v_lshlrev_b64_e32 v[10:11], s0, v[2:3]
	s_add_nc_u64 s[0:1], s[0:1], 8
	v_or_b32_e32 v8, v10, v8
	s_delay_alu instid0(VALU_DEP_2)
	v_or_b32_e32 v9, v11, v9
	s_cbranch_scc1 .LBB6_827
.LBB6_828:                              ;   in Loop: Header=BB6_824 Depth=1
	s_mov_b32 s0, 0
	s_mov_b64 s[10:11], s[4:5]
	s_branch .LBB6_830
.LBB6_829:                              ;   in Loop: Header=BB6_824 Depth=1
	s_add_nc_u64 s[10:11], s[4:5], 8
	s_mov_b32 s0, -1
.LBB6_830:                              ;   in Loop: Header=BB6_824 Depth=1
	s_wait_alu 0xfffe
	s_and_not1_b32 vcc_lo, exec_lo, s0
	s_mov_b32 s14, 0
	s_wait_alu 0xfffe
	s_cbranch_vccnz .LBB6_832
; %bb.831:                              ;   in Loop: Header=BB6_824 Depth=1
	s_wait_loadcnt 0x0
	global_load_b64 v[8:9], v3, s[4:5]
	s_add_co_i32 s14, s8, -8
.LBB6_832:                              ;   in Loop: Header=BB6_824 Depth=1
	s_wait_alu 0xfffe
	s_cmp_gt_u32 s14, 7
	s_cbranch_scc1 .LBB6_837
; %bb.833:                              ;   in Loop: Header=BB6_824 Depth=1
	v_mov_b32_e32 v10, 0
	v_mov_b32_e32 v11, 0
	s_cmp_eq_u32 s14, 0
	s_cbranch_scc1 .LBB6_836
; %bb.834:                              ;   in Loop: Header=BB6_824 Depth=1
	s_mov_b64 s[0:1], 0
	s_mov_b64 s[12:13], 0
.LBB6_835:                              ;   Parent Loop BB6_824 Depth=1
                                        ; =>  This Inner Loop Header: Depth=2
	s_wait_alu 0xfffe
	s_add_nc_u64 s[22:23], s[10:11], s[12:13]
	s_add_nc_u64 s[12:13], s[12:13], 1
	global_load_u8 v2, v3, s[22:23]
	s_wait_alu 0xfffe
	s_cmp_lg_u32 s14, s12
	s_wait_loadcnt 0x0
	v_and_b32_e32 v2, 0xffff, v2
	s_delay_alu instid0(VALU_DEP_1) | instskip(SKIP_1) | instid1(VALU_DEP_1)
	v_lshlrev_b64_e32 v[12:13], s0, v[2:3]
	s_add_nc_u64 s[0:1], s[0:1], 8
	v_or_b32_e32 v10, v12, v10
	s_delay_alu instid0(VALU_DEP_2)
	v_or_b32_e32 v11, v13, v11
	s_cbranch_scc1 .LBB6_835
.LBB6_836:                              ;   in Loop: Header=BB6_824 Depth=1
	s_mov_b32 s12, 0
	s_mov_b64 s[0:1], s[10:11]
	s_branch .LBB6_838
.LBB6_837:                              ;   in Loop: Header=BB6_824 Depth=1
	s_add_nc_u64 s[0:1], s[10:11], 8
	s_mov_b32 s12, -1
                                        ; implicit-def: $vgpr10_vgpr11
.LBB6_838:                              ;   in Loop: Header=BB6_824 Depth=1
	s_wait_alu 0xfffe
	s_and_not1_b32 vcc_lo, exec_lo, s12
	s_mov_b32 s15, 0
	s_wait_alu 0xfffe
	s_cbranch_vccnz .LBB6_840
; %bb.839:                              ;   in Loop: Header=BB6_824 Depth=1
	global_load_b64 v[10:11], v3, s[10:11]
	s_add_co_i32 s15, s14, -8
.LBB6_840:                              ;   in Loop: Header=BB6_824 Depth=1
	s_wait_alu 0xfffe
	s_cmp_gt_u32 s15, 7
	s_cbranch_scc1 .LBB6_845
; %bb.841:                              ;   in Loop: Header=BB6_824 Depth=1
	v_mov_b32_e32 v12, 0
	v_mov_b32_e32 v13, 0
	s_cmp_eq_u32 s15, 0
	s_cbranch_scc1 .LBB6_844
; %bb.842:                              ;   in Loop: Header=BB6_824 Depth=1
	s_mov_b64 s[10:11], 0
	s_mov_b64 s[12:13], 0
.LBB6_843:                              ;   Parent Loop BB6_824 Depth=1
                                        ; =>  This Inner Loop Header: Depth=2
	s_wait_alu 0xfffe
	s_add_nc_u64 s[22:23], s[0:1], s[12:13]
	s_add_nc_u64 s[12:13], s[12:13], 1
	global_load_u8 v2, v3, s[22:23]
	s_wait_alu 0xfffe
	s_cmp_lg_u32 s15, s12
	s_wait_loadcnt 0x0
	v_and_b32_e32 v2, 0xffff, v2
	s_delay_alu instid0(VALU_DEP_1) | instskip(SKIP_1) | instid1(VALU_DEP_1)
	v_lshlrev_b64_e32 v[14:15], s10, v[2:3]
	s_add_nc_u64 s[10:11], s[10:11], 8
	v_or_b32_e32 v12, v14, v12
	s_delay_alu instid0(VALU_DEP_2)
	v_or_b32_e32 v13, v15, v13
	s_cbranch_scc1 .LBB6_843
.LBB6_844:                              ;   in Loop: Header=BB6_824 Depth=1
	s_mov_b32 s12, 0
	s_mov_b64 s[10:11], s[0:1]
	s_branch .LBB6_846
.LBB6_845:                              ;   in Loop: Header=BB6_824 Depth=1
	s_add_nc_u64 s[10:11], s[0:1], 8
	s_mov_b32 s12, -1
.LBB6_846:                              ;   in Loop: Header=BB6_824 Depth=1
	s_wait_alu 0xfffe
	s_and_not1_b32 vcc_lo, exec_lo, s12
	s_mov_b32 s14, 0
	s_wait_alu 0xfffe
	s_cbranch_vccnz .LBB6_848
; %bb.847:                              ;   in Loop: Header=BB6_824 Depth=1
	global_load_b64 v[12:13], v3, s[0:1]
	s_add_co_i32 s14, s15, -8
.LBB6_848:                              ;   in Loop: Header=BB6_824 Depth=1
	s_wait_alu 0xfffe
	s_cmp_gt_u32 s14, 7
	s_cbranch_scc1 .LBB6_853
; %bb.849:                              ;   in Loop: Header=BB6_824 Depth=1
	v_mov_b32_e32 v14, 0
	v_mov_b32_e32 v15, 0
	s_cmp_eq_u32 s14, 0
	s_cbranch_scc1 .LBB6_852
; %bb.850:                              ;   in Loop: Header=BB6_824 Depth=1
	s_mov_b64 s[0:1], 0
	s_mov_b64 s[12:13], 0
.LBB6_851:                              ;   Parent Loop BB6_824 Depth=1
                                        ; =>  This Inner Loop Header: Depth=2
	s_wait_alu 0xfffe
	s_add_nc_u64 s[22:23], s[10:11], s[12:13]
	s_add_nc_u64 s[12:13], s[12:13], 1
	global_load_u8 v2, v3, s[22:23]
	s_wait_alu 0xfffe
	s_cmp_lg_u32 s14, s12
	s_wait_loadcnt 0x0
	v_and_b32_e32 v2, 0xffff, v2
	s_delay_alu instid0(VALU_DEP_1) | instskip(SKIP_1) | instid1(VALU_DEP_1)
	v_lshlrev_b64_e32 v[16:17], s0, v[2:3]
	s_add_nc_u64 s[0:1], s[0:1], 8
	v_or_b32_e32 v14, v16, v14
	s_delay_alu instid0(VALU_DEP_2)
	v_or_b32_e32 v15, v17, v15
	s_cbranch_scc1 .LBB6_851
.LBB6_852:                              ;   in Loop: Header=BB6_824 Depth=1
	s_mov_b32 s12, 0
	s_mov_b64 s[0:1], s[10:11]
	s_branch .LBB6_854
.LBB6_853:                              ;   in Loop: Header=BB6_824 Depth=1
	s_add_nc_u64 s[0:1], s[10:11], 8
	s_mov_b32 s12, -1
                                        ; implicit-def: $vgpr14_vgpr15
.LBB6_854:                              ;   in Loop: Header=BB6_824 Depth=1
	s_wait_alu 0xfffe
	s_and_not1_b32 vcc_lo, exec_lo, s12
	s_mov_b32 s15, 0
	s_wait_alu 0xfffe
	s_cbranch_vccnz .LBB6_856
; %bb.855:                              ;   in Loop: Header=BB6_824 Depth=1
	global_load_b64 v[14:15], v3, s[10:11]
	s_add_co_i32 s15, s14, -8
.LBB6_856:                              ;   in Loop: Header=BB6_824 Depth=1
	s_wait_alu 0xfffe
	s_cmp_gt_u32 s15, 7
	s_cbranch_scc1 .LBB6_861
; %bb.857:                              ;   in Loop: Header=BB6_824 Depth=1
	v_mov_b32_e32 v16, 0
	v_mov_b32_e32 v17, 0
	s_cmp_eq_u32 s15, 0
	s_cbranch_scc1 .LBB6_860
; %bb.858:                              ;   in Loop: Header=BB6_824 Depth=1
	s_mov_b64 s[10:11], 0
	s_mov_b64 s[12:13], 0
.LBB6_859:                              ;   Parent Loop BB6_824 Depth=1
                                        ; =>  This Inner Loop Header: Depth=2
	s_wait_alu 0xfffe
	s_add_nc_u64 s[22:23], s[0:1], s[12:13]
	s_add_nc_u64 s[12:13], s[12:13], 1
	global_load_u8 v2, v3, s[22:23]
	s_wait_alu 0xfffe
	s_cmp_lg_u32 s15, s12
	s_wait_loadcnt 0x0
	v_and_b32_e32 v2, 0xffff, v2
	s_delay_alu instid0(VALU_DEP_1) | instskip(SKIP_1) | instid1(VALU_DEP_1)
	v_lshlrev_b64_e32 v[18:19], s10, v[2:3]
	s_add_nc_u64 s[10:11], s[10:11], 8
	v_or_b32_e32 v16, v18, v16
	s_delay_alu instid0(VALU_DEP_2)
	v_or_b32_e32 v17, v19, v17
	s_cbranch_scc1 .LBB6_859
.LBB6_860:                              ;   in Loop: Header=BB6_824 Depth=1
	s_mov_b32 s12, 0
	s_mov_b64 s[10:11], s[0:1]
	s_branch .LBB6_862
.LBB6_861:                              ;   in Loop: Header=BB6_824 Depth=1
	s_add_nc_u64 s[10:11], s[0:1], 8
	s_mov_b32 s12, -1
.LBB6_862:                              ;   in Loop: Header=BB6_824 Depth=1
	s_wait_alu 0xfffe
	s_and_not1_b32 vcc_lo, exec_lo, s12
	s_mov_b32 s14, 0
	s_wait_alu 0xfffe
	s_cbranch_vccnz .LBB6_864
; %bb.863:                              ;   in Loop: Header=BB6_824 Depth=1
	global_load_b64 v[16:17], v3, s[0:1]
	s_add_co_i32 s14, s15, -8
.LBB6_864:                              ;   in Loop: Header=BB6_824 Depth=1
	s_wait_alu 0xfffe
	s_cmp_gt_u32 s14, 7
	s_cbranch_scc1 .LBB6_869
; %bb.865:                              ;   in Loop: Header=BB6_824 Depth=1
	v_mov_b32_e32 v18, 0
	v_mov_b32_e32 v19, 0
	s_cmp_eq_u32 s14, 0
	s_cbranch_scc1 .LBB6_868
; %bb.866:                              ;   in Loop: Header=BB6_824 Depth=1
	s_mov_b64 s[0:1], 0
	s_mov_b64 s[12:13], 0
.LBB6_867:                              ;   Parent Loop BB6_824 Depth=1
                                        ; =>  This Inner Loop Header: Depth=2
	s_wait_alu 0xfffe
	s_add_nc_u64 s[22:23], s[10:11], s[12:13]
	s_add_nc_u64 s[12:13], s[12:13], 1
	global_load_u8 v2, v3, s[22:23]
	s_wait_alu 0xfffe
	s_cmp_lg_u32 s14, s12
	s_wait_loadcnt 0x0
	v_and_b32_e32 v2, 0xffff, v2
	s_delay_alu instid0(VALU_DEP_1) | instskip(SKIP_1) | instid1(VALU_DEP_1)
	v_lshlrev_b64_e32 v[20:21], s0, v[2:3]
	s_add_nc_u64 s[0:1], s[0:1], 8
	v_or_b32_e32 v18, v20, v18
	s_delay_alu instid0(VALU_DEP_2)
	v_or_b32_e32 v19, v21, v19
	s_cbranch_scc1 .LBB6_867
.LBB6_868:                              ;   in Loop: Header=BB6_824 Depth=1
	s_mov_b32 s12, 0
	s_mov_b64 s[0:1], s[10:11]
	s_branch .LBB6_870
.LBB6_869:                              ;   in Loop: Header=BB6_824 Depth=1
	s_add_nc_u64 s[0:1], s[10:11], 8
	s_mov_b32 s12, -1
                                        ; implicit-def: $vgpr18_vgpr19
.LBB6_870:                              ;   in Loop: Header=BB6_824 Depth=1
	s_wait_alu 0xfffe
	s_and_not1_b32 vcc_lo, exec_lo, s12
	s_mov_b32 s15, 0
	s_wait_alu 0xfffe
	s_cbranch_vccnz .LBB6_872
; %bb.871:                              ;   in Loop: Header=BB6_824 Depth=1
	global_load_b64 v[18:19], v3, s[10:11]
	s_add_co_i32 s15, s14, -8
.LBB6_872:                              ;   in Loop: Header=BB6_824 Depth=1
	s_wait_alu 0xfffe
	s_cmp_gt_u32 s15, 7
	s_cbranch_scc1 .LBB6_877
; %bb.873:                              ;   in Loop: Header=BB6_824 Depth=1
	v_mov_b32_e32 v20, 0
	v_mov_b32_e32 v21, 0
	s_cmp_eq_u32 s15, 0
	s_cbranch_scc1 .LBB6_876
; %bb.874:                              ;   in Loop: Header=BB6_824 Depth=1
	s_mov_b64 s[10:11], 0
	s_mov_b64 s[12:13], s[0:1]
.LBB6_875:                              ;   Parent Loop BB6_824 Depth=1
                                        ; =>  This Inner Loop Header: Depth=2
	global_load_u8 v2, v3, s[12:13]
	s_add_co_i32 s15, s15, -1
	s_wait_alu 0xfffe
	s_add_nc_u64 s[12:13], s[12:13], 1
	s_cmp_lg_u32 s15, 0
	s_wait_loadcnt 0x0
	v_and_b32_e32 v2, 0xffff, v2
	s_delay_alu instid0(VALU_DEP_1) | instskip(SKIP_1) | instid1(VALU_DEP_1)
	v_lshlrev_b64_e32 v[22:23], s10, v[2:3]
	s_add_nc_u64 s[10:11], s[10:11], 8
	v_or_b32_e32 v20, v22, v20
	s_delay_alu instid0(VALU_DEP_2)
	v_or_b32_e32 v21, v23, v21
	s_cbranch_scc1 .LBB6_875
.LBB6_876:                              ;   in Loop: Header=BB6_824 Depth=1
	s_mov_b32 s10, 0
	s_branch .LBB6_878
.LBB6_877:                              ;   in Loop: Header=BB6_824 Depth=1
	s_mov_b32 s10, -1
.LBB6_878:                              ;   in Loop: Header=BB6_824 Depth=1
	s_wait_alu 0xfffe
	s_and_not1_b32 vcc_lo, exec_lo, s10
	s_wait_alu 0xfffe
	s_cbranch_vccnz .LBB6_880
; %bb.879:                              ;   in Loop: Header=BB6_824 Depth=1
	global_load_b64 v[20:21], v3, s[0:1]
.LBB6_880:                              ;   in Loop: Header=BB6_824 Depth=1
	v_readfirstlane_b32 s0, v31
	v_mov_b32_e32 v26, 0
	v_mov_b32_e32 v27, 0
	s_wait_alu 0xf1ff
	s_delay_alu instid0(VALU_DEP_3)
	v_cmp_eq_u32_e64 s0, s0, v31
	s_and_saveexec_b32 s1, s0
	s_cbranch_execz .LBB6_886
; %bb.881:                              ;   in Loop: Header=BB6_824 Depth=1
	global_load_b64 v[24:25], v3, s[2:3] offset:24 scope:SCOPE_SYS
	s_wait_loadcnt 0x0
	global_inv scope:SCOPE_SYS
	s_clause 0x1
	global_load_b64 v[22:23], v3, s[2:3] offset:40
	global_load_b64 v[26:27], v3, s[2:3]
	s_mov_b32 s10, exec_lo
	s_wait_loadcnt 0x1
	v_and_b32_e32 v2, v23, v25
	v_and_b32_e32 v22, v22, v24
	s_delay_alu instid0(VALU_DEP_2) | instskip(NEXT) | instid1(VALU_DEP_2)
	v_mul_lo_u32 v2, 24, v2
	v_mul_lo_u32 v23, 0, v22
	v_mul_hi_u32 v28, 24, v22
	v_mul_lo_u32 v22, 24, v22
	s_delay_alu instid0(VALU_DEP_3) | instskip(SKIP_1) | instid1(VALU_DEP_2)
	v_add_nc_u32_e32 v2, v2, v23
	s_wait_loadcnt 0x0
	v_add_co_u32 v22, vcc_lo, v26, v22
	s_delay_alu instid0(VALU_DEP_2) | instskip(SKIP_1) | instid1(VALU_DEP_1)
	v_add_nc_u32_e32 v2, v2, v28
	s_wait_alu 0xfffd
	v_add_co_ci_u32_e64 v23, null, v27, v2, vcc_lo
	global_load_b64 v[22:23], v[22:23], off scope:SCOPE_SYS
	s_wait_loadcnt 0x0
	global_atomic_cmpswap_b64 v[26:27], v3, v[22:25], s[2:3] offset:24 th:TH_ATOMIC_RETURN scope:SCOPE_SYS
	s_wait_loadcnt 0x0
	global_inv scope:SCOPE_SYS
	v_cmpx_ne_u64_e64 v[26:27], v[24:25]
	s_cbranch_execz .LBB6_885
; %bb.882:                              ;   in Loop: Header=BB6_824 Depth=1
	s_mov_b32 s11, 0
.LBB6_883:                              ;   Parent Loop BB6_824 Depth=1
                                        ; =>  This Inner Loop Header: Depth=2
	s_sleep 1
	s_clause 0x1
	global_load_b64 v[22:23], v3, s[2:3] offset:40
	global_load_b64 v[28:29], v3, s[2:3]
	v_dual_mov_b32 v24, v26 :: v_dual_mov_b32 v25, v27
	s_wait_loadcnt 0x1
	s_delay_alu instid0(VALU_DEP_1) | instskip(NEXT) | instid1(VALU_DEP_2)
	v_and_b32_e32 v2, v22, v24
	v_and_b32_e32 v22, v23, v25
	s_wait_loadcnt 0x0
	s_delay_alu instid0(VALU_DEP_2) | instskip(NEXT) | instid1(VALU_DEP_1)
	v_mad_co_u64_u32 v[26:27], null, v2, 24, v[28:29]
	v_mov_b32_e32 v2, v27
	s_delay_alu instid0(VALU_DEP_1) | instskip(NEXT) | instid1(VALU_DEP_1)
	v_mad_co_u64_u32 v[22:23], null, v22, 24, v[2:3]
	v_mov_b32_e32 v27, v22
	global_load_b64 v[22:23], v[26:27], off scope:SCOPE_SYS
	s_wait_loadcnt 0x0
	global_atomic_cmpswap_b64 v[26:27], v3, v[22:25], s[2:3] offset:24 th:TH_ATOMIC_RETURN scope:SCOPE_SYS
	s_wait_loadcnt 0x0
	global_inv scope:SCOPE_SYS
	v_cmp_eq_u64_e32 vcc_lo, v[26:27], v[24:25]
	s_wait_alu 0xfffe
	s_or_b32 s11, vcc_lo, s11
	s_wait_alu 0xfffe
	s_and_not1_b32 exec_lo, exec_lo, s11
	s_cbranch_execnz .LBB6_883
; %bb.884:                              ;   in Loop: Header=BB6_824 Depth=1
	s_or_b32 exec_lo, exec_lo, s11
.LBB6_885:                              ;   in Loop: Header=BB6_824 Depth=1
	s_wait_alu 0xfffe
	s_or_b32 exec_lo, exec_lo, s10
.LBB6_886:                              ;   in Loop: Header=BB6_824 Depth=1
	s_wait_alu 0xfffe
	s_or_b32 exec_lo, exec_lo, s1
	s_clause 0x1
	global_load_b64 v[28:29], v3, s[2:3] offset:40
	global_load_b128 v[22:25], v3, s[2:3]
	v_readfirstlane_b32 s11, v27
	v_readfirstlane_b32 s10, v26
	s_mov_b32 s1, exec_lo
	s_wait_loadcnt 0x1
	s_wait_alu 0xf1ff
	v_and_b32_e32 v29, s11, v29
	v_and_b32_e32 v28, s10, v28
	s_delay_alu instid0(VALU_DEP_2) | instskip(NEXT) | instid1(VALU_DEP_2)
	v_mul_lo_u32 v2, 24, v29
	v_mul_lo_u32 v26, 0, v28
	v_mul_hi_u32 v27, 24, v28
	v_mul_lo_u32 v32, 24, v28
	s_delay_alu instid0(VALU_DEP_3) | instskip(SKIP_1) | instid1(VALU_DEP_2)
	v_add_nc_u32_e32 v2, v2, v26
	s_wait_loadcnt 0x0
	v_add_co_u32 v26, vcc_lo, v22, v32
	s_delay_alu instid0(VALU_DEP_2) | instskip(SKIP_1) | instid1(VALU_DEP_1)
	v_add_nc_u32_e32 v2, v2, v27
	s_wait_alu 0xfffd
	v_add_co_ci_u32_e64 v27, null, v23, v2, vcc_lo
	s_and_saveexec_b32 s12, s0
	s_cbranch_execz .LBB6_888
; %bb.887:                              ;   in Loop: Header=BB6_824 Depth=1
	s_wait_alu 0xfffe
	v_mov_b32_e32 v2, s1
	global_store_b128 v[26:27], v[2:5], off offset:8
.LBB6_888:                              ;   in Loop: Header=BB6_824 Depth=1
	s_wait_alu 0xfffe
	s_or_b32 exec_lo, exec_lo, s12
	v_cmp_gt_u64_e64 s1, s[6:7], 56
	v_lshlrev_b64_e32 v[28:29], 12, v[28:29]
	v_and_b32_e32 v2, 0xffffff1f, v6
	s_and_b32 s1, s1, exec_lo
	s_delay_alu instid0(VALU_DEP_2)
	v_add_co_u32 v24, vcc_lo, v24, v28
	s_cselect_b32 s1, 0, 2
	s_wait_alu 0xfffd
	v_add_co_ci_u32_e64 v25, null, v25, v29, vcc_lo
	s_wait_alu 0xfffe
	v_or_b32_e32 v2, s1, v2
	s_lshl_b32 s12, s8, 2
	s_wait_alu 0xfffe
	s_add_co_i32 s1, s12, 28
	v_readfirstlane_b32 s12, v24
	v_readfirstlane_b32 s13, v25
	s_wait_alu 0xfffe
	v_and_or_b32 v6, 0x1e0, s1, v2
	s_clause 0x3
	global_store_b128 v30, v[6:9], s[12:13]
	global_store_b128 v30, v[10:13], s[12:13] offset:16
	global_store_b128 v30, v[14:17], s[12:13] offset:32
	;; [unrolled: 1-line block ×3, first 2 shown]
	s_and_saveexec_b32 s1, s0
	s_cbranch_execz .LBB6_896
; %bb.889:                              ;   in Loop: Header=BB6_824 Depth=1
	s_clause 0x1
	global_load_b64 v[14:15], v3, s[2:3] offset:32 scope:SCOPE_SYS
	global_load_b64 v[6:7], v3, s[2:3] offset:40
	v_mov_b32_e32 v12, s10
	s_mov_b32 s12, exec_lo
	s_wait_loadcnt 0x0
	v_dual_mov_b32 v13, s11 :: v_dual_and_b32 v2, s11, v7
	v_and_b32_e32 v6, s10, v6
	s_delay_alu instid0(VALU_DEP_2) | instskip(NEXT) | instid1(VALU_DEP_2)
	v_mul_lo_u32 v2, 24, v2
	v_mul_lo_u32 v7, 0, v6
	v_mul_hi_u32 v8, 24, v6
	v_mul_lo_u32 v6, 24, v6
	s_delay_alu instid0(VALU_DEP_3) | instskip(NEXT) | instid1(VALU_DEP_2)
	v_add_nc_u32_e32 v2, v2, v7
	v_add_co_u32 v10, vcc_lo, v22, v6
	s_delay_alu instid0(VALU_DEP_2) | instskip(SKIP_1) | instid1(VALU_DEP_1)
	v_add_nc_u32_e32 v2, v2, v8
	s_wait_alu 0xfffd
	v_add_co_ci_u32_e64 v11, null, v23, v2, vcc_lo
	global_store_b64 v[10:11], v[14:15], off
	global_wb scope:SCOPE_SYS
	s_wait_storecnt 0x0
	global_atomic_cmpswap_b64 v[8:9], v3, v[12:15], s[2:3] offset:32 th:TH_ATOMIC_RETURN scope:SCOPE_SYS
	s_wait_loadcnt 0x0
	v_cmpx_ne_u64_e64 v[8:9], v[14:15]
	s_cbranch_execz .LBB6_892
; %bb.890:                              ;   in Loop: Header=BB6_824 Depth=1
	s_mov_b32 s13, 0
.LBB6_891:                              ;   Parent Loop BB6_824 Depth=1
                                        ; =>  This Inner Loop Header: Depth=2
	v_dual_mov_b32 v6, s10 :: v_dual_mov_b32 v7, s11
	s_sleep 1
	global_store_b64 v[10:11], v[8:9], off
	global_wb scope:SCOPE_SYS
	s_wait_storecnt 0x0
	global_atomic_cmpswap_b64 v[6:7], v3, v[6:9], s[2:3] offset:32 th:TH_ATOMIC_RETURN scope:SCOPE_SYS
	s_wait_loadcnt 0x0
	v_cmp_eq_u64_e32 vcc_lo, v[6:7], v[8:9]
	v_dual_mov_b32 v9, v7 :: v_dual_mov_b32 v8, v6
	s_wait_alu 0xfffe
	s_or_b32 s13, vcc_lo, s13
	s_wait_alu 0xfffe
	s_and_not1_b32 exec_lo, exec_lo, s13
	s_cbranch_execnz .LBB6_891
.LBB6_892:                              ;   in Loop: Header=BB6_824 Depth=1
	s_wait_alu 0xfffe
	s_or_b32 exec_lo, exec_lo, s12
	global_load_b64 v[6:7], v3, s[2:3] offset:16
	s_mov_b32 s13, exec_lo
	s_mov_b32 s12, exec_lo
	s_wait_alu 0xfffe
	v_mbcnt_lo_u32_b32 v2, s13, 0
	s_delay_alu instid0(VALU_DEP_1)
	v_cmpx_eq_u32_e32 0, v2
	s_cbranch_execz .LBB6_894
; %bb.893:                              ;   in Loop: Header=BB6_824 Depth=1
	s_bcnt1_i32_b32 s13, s13
	s_wait_alu 0xfffe
	v_mov_b32_e32 v2, s13
	global_wb scope:SCOPE_SYS
	s_wait_loadcnt 0x0
	s_wait_storecnt 0x0
	global_atomic_add_u64 v[6:7], v[2:3], off offset:8 scope:SCOPE_SYS
.LBB6_894:                              ;   in Loop: Header=BB6_824 Depth=1
	s_or_b32 exec_lo, exec_lo, s12
	s_wait_loadcnt 0x0
	global_load_b64 v[8:9], v[6:7], off offset:16
	s_wait_loadcnt 0x0
	v_cmp_eq_u64_e32 vcc_lo, 0, v[8:9]
	s_cbranch_vccnz .LBB6_896
; %bb.895:                              ;   in Loop: Header=BB6_824 Depth=1
	global_load_b32 v2, v[6:7], off offset:24
	s_wait_loadcnt 0x0
	v_readfirstlane_b32 s12, v2
	global_wb scope:SCOPE_SYS
	s_wait_storecnt 0x0
	global_store_b64 v[8:9], v[2:3], off scope:SCOPE_SYS
	s_and_b32 m0, s12, 0xffffff
	s_sendmsg sendmsg(MSG_INTERRUPT)
.LBB6_896:                              ;   in Loop: Header=BB6_824 Depth=1
	s_wait_alu 0xfffe
	s_or_b32 exec_lo, exec_lo, s1
	v_add_co_u32 v6, vcc_lo, v24, v30
	s_wait_alu 0xfffd
	v_add_co_ci_u32_e64 v7, null, 0, v25, vcc_lo
	s_branch .LBB6_900
.LBB6_897:                              ;   in Loop: Header=BB6_900 Depth=2
	s_wait_alu 0xfffe
	s_or_b32 exec_lo, exec_lo, s1
	s_delay_alu instid0(VALU_DEP_1)
	v_readfirstlane_b32 s1, v2
	s_cmp_eq_u32 s1, 0
	s_cbranch_scc1 .LBB6_899
; %bb.898:                              ;   in Loop: Header=BB6_900 Depth=2
	s_sleep 1
	s_cbranch_execnz .LBB6_900
	s_branch .LBB6_902
.LBB6_899:                              ;   in Loop: Header=BB6_824 Depth=1
	s_branch .LBB6_902
.LBB6_900:                              ;   Parent Loop BB6_824 Depth=1
                                        ; =>  This Inner Loop Header: Depth=2
	v_mov_b32_e32 v2, 1
	s_and_saveexec_b32 s1, s0
	s_cbranch_execz .LBB6_897
; %bb.901:                              ;   in Loop: Header=BB6_900 Depth=2
	global_load_b32 v2, v[26:27], off offset:20 scope:SCOPE_SYS
	s_wait_loadcnt 0x0
	global_inv scope:SCOPE_SYS
	v_and_b32_e32 v2, 1, v2
	s_branch .LBB6_897
.LBB6_902:                              ;   in Loop: Header=BB6_824 Depth=1
	global_load_b128 v[6:9], v[6:7], off
	s_and_saveexec_b32 s12, s0
	s_cbranch_execz .LBB6_823
; %bb.903:                              ;   in Loop: Header=BB6_824 Depth=1
	s_wait_loadcnt 0x0
	s_clause 0x2
	global_load_b64 v[8:9], v3, s[2:3] offset:40
	global_load_b64 v[16:17], v3, s[2:3] offset:24 scope:SCOPE_SYS
	global_load_b64 v[10:11], v3, s[2:3]
	s_wait_loadcnt 0x2
	v_readfirstlane_b32 s14, v8
	v_readfirstlane_b32 s15, v9
	s_add_nc_u64 s[0:1], s[14:15], 1
	s_wait_alu 0xfffe
	s_add_nc_u64 s[10:11], s[0:1], s[10:11]
	s_wait_alu 0xfffe
	s_cmp_eq_u64 s[10:11], 0
	s_cselect_b32 s1, s1, s11
	s_cselect_b32 s0, s0, s10
	s_wait_alu 0xfffe
	v_dual_mov_b32 v15, s1 :: v_dual_mov_b32 v14, s0
	s_and_b64 s[10:11], s[0:1], s[14:15]
	s_wait_alu 0xfffe
	s_mul_u64 s[10:11], s[10:11], 24
	s_wait_loadcnt 0x0
	s_wait_alu 0xfffe
	v_add_co_u32 v12, vcc_lo, v10, s10
	s_wait_alu 0xfffd
	v_add_co_ci_u32_e64 v13, null, s11, v11, vcc_lo
	global_store_b64 v[12:13], v[16:17], off
	global_wb scope:SCOPE_SYS
	s_wait_storecnt 0x0
	global_atomic_cmpswap_b64 v[10:11], v3, v[14:17], s[2:3] offset:24 th:TH_ATOMIC_RETURN scope:SCOPE_SYS
	s_wait_loadcnt 0x0
	v_cmp_ne_u64_e32 vcc_lo, v[10:11], v[16:17]
	s_and_b32 exec_lo, exec_lo, vcc_lo
	s_cbranch_execz .LBB6_823
; %bb.904:                              ;   in Loop: Header=BB6_824 Depth=1
	s_mov_b32 s10, 0
.LBB6_905:                              ;   Parent Loop BB6_824 Depth=1
                                        ; =>  This Inner Loop Header: Depth=2
	v_dual_mov_b32 v8, s0 :: v_dual_mov_b32 v9, s1
	s_sleep 1
	global_store_b64 v[12:13], v[10:11], off
	global_wb scope:SCOPE_SYS
	s_wait_storecnt 0x0
	global_atomic_cmpswap_b64 v[8:9], v3, v[8:11], s[2:3] offset:24 th:TH_ATOMIC_RETURN scope:SCOPE_SYS
	s_wait_loadcnt 0x0
	v_cmp_eq_u64_e32 vcc_lo, v[8:9], v[10:11]
	v_dual_mov_b32 v11, v9 :: v_dual_mov_b32 v10, v8
	s_wait_alu 0xfffe
	s_or_b32 s10, vcc_lo, s10
	s_wait_alu 0xfffe
	s_and_not1_b32 exec_lo, exec_lo, s10
	s_cbranch_execnz .LBB6_905
	s_branch .LBB6_823
.LBB6_906:
	s_mov_b32 s0, 0
	s_branch .LBB6_908
.LBB6_907:
	s_mov_b32 s0, -1
.LBB6_908:
	s_wait_alu 0xfffe
	s_and_b32 vcc_lo, exec_lo, s0
	s_wait_alu 0xfffe
	s_cbranch_vccz .LBB6_936
; %bb.909:
	v_readfirstlane_b32 s0, v31
	s_wait_loadcnt 0x0
	v_mov_b32_e32 v8, 0
	v_mov_b32_e32 v9, 0
	s_wait_alu 0xf1ff
	v_cmp_eq_u32_e64 s0, s0, v31
	s_and_saveexec_b32 s1, s0
	s_cbranch_execz .LBB6_915
; %bb.910:
	v_mov_b32_e32 v2, 0
	s_mov_b32 s4, exec_lo
	global_load_b64 v[5:6], v2, s[2:3] offset:24 scope:SCOPE_SYS
	s_wait_loadcnt 0x0
	global_inv scope:SCOPE_SYS
	s_clause 0x1
	global_load_b64 v[3:4], v2, s[2:3] offset:40
	global_load_b64 v[7:8], v2, s[2:3]
	s_wait_loadcnt 0x1
	v_and_b32_e32 v4, v4, v6
	v_and_b32_e32 v3, v3, v5
	s_delay_alu instid0(VALU_DEP_2) | instskip(NEXT) | instid1(VALU_DEP_2)
	v_mul_lo_u32 v4, 24, v4
	v_mul_lo_u32 v9, 0, v3
	v_mul_hi_u32 v10, 24, v3
	v_mul_lo_u32 v3, 24, v3
	s_delay_alu instid0(VALU_DEP_3) | instskip(SKIP_1) | instid1(VALU_DEP_2)
	v_add_nc_u32_e32 v4, v4, v9
	s_wait_loadcnt 0x0
	v_add_co_u32 v3, vcc_lo, v7, v3
	s_delay_alu instid0(VALU_DEP_2) | instskip(SKIP_1) | instid1(VALU_DEP_1)
	v_add_nc_u32_e32 v4, v4, v10
	s_wait_alu 0xfffd
	v_add_co_ci_u32_e64 v4, null, v8, v4, vcc_lo
	global_load_b64 v[3:4], v[3:4], off scope:SCOPE_SYS
	s_wait_loadcnt 0x0
	global_atomic_cmpswap_b64 v[8:9], v2, v[3:6], s[2:3] offset:24 th:TH_ATOMIC_RETURN scope:SCOPE_SYS
	s_wait_loadcnt 0x0
	global_inv scope:SCOPE_SYS
	v_cmpx_ne_u64_e64 v[8:9], v[5:6]
	s_cbranch_execz .LBB6_914
; %bb.911:
	s_mov_b32 s5, 0
.LBB6_912:                              ; =>This Inner Loop Header: Depth=1
	s_sleep 1
	s_clause 0x1
	global_load_b64 v[3:4], v2, s[2:3] offset:40
	global_load_b64 v[10:11], v2, s[2:3]
	v_dual_mov_b32 v5, v8 :: v_dual_mov_b32 v6, v9
	s_wait_loadcnt 0x1
	s_delay_alu instid0(VALU_DEP_1) | instskip(NEXT) | instid1(VALU_DEP_2)
	v_and_b32_e32 v3, v3, v5
	v_and_b32_e32 v4, v4, v6
	s_wait_loadcnt 0x0
	s_delay_alu instid0(VALU_DEP_2) | instskip(NEXT) | instid1(VALU_DEP_1)
	v_mad_co_u64_u32 v[7:8], null, v3, 24, v[10:11]
	v_mov_b32_e32 v3, v8
	s_delay_alu instid0(VALU_DEP_1) | instskip(NEXT) | instid1(VALU_DEP_1)
	v_mad_co_u64_u32 v[3:4], null, v4, 24, v[3:4]
	v_mov_b32_e32 v8, v3
	global_load_b64 v[3:4], v[7:8], off scope:SCOPE_SYS
	s_wait_loadcnt 0x0
	global_atomic_cmpswap_b64 v[8:9], v2, v[3:6], s[2:3] offset:24 th:TH_ATOMIC_RETURN scope:SCOPE_SYS
	s_wait_loadcnt 0x0
	global_inv scope:SCOPE_SYS
	v_cmp_eq_u64_e32 vcc_lo, v[8:9], v[5:6]
	s_wait_alu 0xfffe
	s_or_b32 s5, vcc_lo, s5
	s_wait_alu 0xfffe
	s_and_not1_b32 exec_lo, exec_lo, s5
	s_cbranch_execnz .LBB6_912
; %bb.913:
	s_or_b32 exec_lo, exec_lo, s5
.LBB6_914:
	s_wait_alu 0xfffe
	s_or_b32 exec_lo, exec_lo, s4
.LBB6_915:
	s_wait_alu 0xfffe
	s_or_b32 exec_lo, exec_lo, s1
	v_readfirstlane_b32 s5, v9
	v_mov_b32_e32 v2, 0
	v_readfirstlane_b32 s4, v8
	s_mov_b32 s1, exec_lo
	s_clause 0x1
	global_load_b64 v[10:11], v2, s[2:3] offset:40
	global_load_b128 v[4:7], v2, s[2:3]
	s_wait_loadcnt 0x1
	s_wait_alu 0xf1ff
	v_and_b32_e32 v11, s5, v11
	v_and_b32_e32 v10, s4, v10
	s_delay_alu instid0(VALU_DEP_2) | instskip(NEXT) | instid1(VALU_DEP_2)
	v_mul_lo_u32 v3, 24, v11
	v_mul_lo_u32 v8, 0, v10
	v_mul_hi_u32 v9, 24, v10
	v_mul_lo_u32 v12, 24, v10
	s_delay_alu instid0(VALU_DEP_3) | instskip(SKIP_1) | instid1(VALU_DEP_2)
	v_add_nc_u32_e32 v3, v3, v8
	s_wait_loadcnt 0x0
	v_add_co_u32 v8, vcc_lo, v4, v12
	s_delay_alu instid0(VALU_DEP_2) | instskip(SKIP_1) | instid1(VALU_DEP_1)
	v_add_nc_u32_e32 v3, v3, v9
	s_wait_alu 0xfffd
	v_add_co_ci_u32_e64 v9, null, v5, v3, vcc_lo
	s_and_saveexec_b32 s6, s0
	s_cbranch_execz .LBB6_917
; %bb.916:
	s_wait_alu 0xfffe
	v_dual_mov_b32 v12, s1 :: v_dual_mov_b32 v13, v2
	v_dual_mov_b32 v14, 2 :: v_dual_mov_b32 v15, 1
	global_store_b128 v[8:9], v[12:15], off offset:8
.LBB6_917:
	s_wait_alu 0xfffe
	s_or_b32 exec_lo, exec_lo, s6
	v_lshlrev_b64_e32 v[10:11], 12, v[10:11]
	s_mov_b32 s8, 0
	v_and_or_b32 v0, 0xffffff1d, v0, 34
	s_wait_alu 0xfffe
	s_mov_b32 s11, s8
	s_mov_b32 s9, s8
	;; [unrolled: 1-line block ×3, first 2 shown]
	v_add_co_u32 v6, vcc_lo, v6, v10
	s_wait_alu 0xfffd
	v_add_co_ci_u32_e64 v7, null, v7, v11, vcc_lo
	v_mov_b32_e32 v3, v2
	s_delay_alu instid0(VALU_DEP_3)
	v_readfirstlane_b32 s6, v6
	s_wait_alu 0xfffe
	v_dual_mov_b32 v13, s11 :: v_dual_mov_b32 v10, s8
	v_readfirstlane_b32 s7, v7
	v_dual_mov_b32 v12, s10 :: v_dual_mov_b32 v11, s9
	s_clause 0x3
	global_store_b128 v30, v[0:3], s[6:7]
	global_store_b128 v30, v[10:13], s[6:7] offset:16
	global_store_b128 v30, v[10:13], s[6:7] offset:32
	global_store_b128 v30, v[10:13], s[6:7] offset:48
	s_and_saveexec_b32 s1, s0
	s_cbranch_execz .LBB6_925
; %bb.918:
	v_mov_b32_e32 v6, 0
	s_mov_b32 s6, exec_lo
	s_clause 0x1
	global_load_b64 v[12:13], v6, s[2:3] offset:32 scope:SCOPE_SYS
	global_load_b64 v[0:1], v6, s[2:3] offset:40
	v_dual_mov_b32 v11, s5 :: v_dual_mov_b32 v10, s4
	s_wait_loadcnt 0x0
	v_and_b32_e32 v1, s5, v1
	v_and_b32_e32 v0, s4, v0
	s_delay_alu instid0(VALU_DEP_2) | instskip(NEXT) | instid1(VALU_DEP_2)
	v_mul_lo_u32 v1, 24, v1
	v_mul_lo_u32 v2, 0, v0
	v_mul_hi_u32 v3, 24, v0
	v_mul_lo_u32 v0, 24, v0
	s_delay_alu instid0(VALU_DEP_3) | instskip(NEXT) | instid1(VALU_DEP_2)
	v_add_nc_u32_e32 v1, v1, v2
	v_add_co_u32 v4, vcc_lo, v4, v0
	s_delay_alu instid0(VALU_DEP_2) | instskip(SKIP_1) | instid1(VALU_DEP_1)
	v_add_nc_u32_e32 v1, v1, v3
	s_wait_alu 0xfffd
	v_add_co_ci_u32_e64 v5, null, v5, v1, vcc_lo
	global_store_b64 v[4:5], v[12:13], off
	global_wb scope:SCOPE_SYS
	s_wait_storecnt 0x0
	global_atomic_cmpswap_b64 v[2:3], v6, v[10:13], s[2:3] offset:32 th:TH_ATOMIC_RETURN scope:SCOPE_SYS
	s_wait_loadcnt 0x0
	v_cmpx_ne_u64_e64 v[2:3], v[12:13]
	s_cbranch_execz .LBB6_921
; %bb.919:
	s_mov_b32 s7, 0
.LBB6_920:                              ; =>This Inner Loop Header: Depth=1
	v_dual_mov_b32 v0, s4 :: v_dual_mov_b32 v1, s5
	s_sleep 1
	global_store_b64 v[4:5], v[2:3], off
	global_wb scope:SCOPE_SYS
	s_wait_storecnt 0x0
	global_atomic_cmpswap_b64 v[0:1], v6, v[0:3], s[2:3] offset:32 th:TH_ATOMIC_RETURN scope:SCOPE_SYS
	s_wait_loadcnt 0x0
	v_cmp_eq_u64_e32 vcc_lo, v[0:1], v[2:3]
	v_dual_mov_b32 v3, v1 :: v_dual_mov_b32 v2, v0
	s_wait_alu 0xfffe
	s_or_b32 s7, vcc_lo, s7
	s_wait_alu 0xfffe
	s_and_not1_b32 exec_lo, exec_lo, s7
	s_cbranch_execnz .LBB6_920
.LBB6_921:
	s_wait_alu 0xfffe
	s_or_b32 exec_lo, exec_lo, s6
	v_mov_b32_e32 v3, 0
	s_mov_b32 s7, exec_lo
	s_mov_b32 s6, exec_lo
	s_wait_alu 0xfffe
	v_mbcnt_lo_u32_b32 v2, s7, 0
	global_load_b64 v[0:1], v3, s[2:3] offset:16
	v_cmpx_eq_u32_e32 0, v2
	s_cbranch_execz .LBB6_923
; %bb.922:
	s_bcnt1_i32_b32 s7, s7
	s_wait_alu 0xfffe
	v_mov_b32_e32 v2, s7
	global_wb scope:SCOPE_SYS
	s_wait_loadcnt 0x0
	s_wait_storecnt 0x0
	global_atomic_add_u64 v[0:1], v[2:3], off offset:8 scope:SCOPE_SYS
.LBB6_923:
	s_or_b32 exec_lo, exec_lo, s6
	s_wait_loadcnt 0x0
	global_load_b64 v[2:3], v[0:1], off offset:16
	s_wait_loadcnt 0x0
	v_cmp_eq_u64_e32 vcc_lo, 0, v[2:3]
	s_cbranch_vccnz .LBB6_925
; %bb.924:
	global_load_b32 v0, v[0:1], off offset:24
	v_mov_b32_e32 v1, 0
	s_wait_loadcnt 0x0
	v_readfirstlane_b32 s6, v0
	global_wb scope:SCOPE_SYS
	s_wait_storecnt 0x0
	global_store_b64 v[2:3], v[0:1], off scope:SCOPE_SYS
	s_and_b32 m0, s6, 0xffffff
	s_sendmsg sendmsg(MSG_INTERRUPT)
.LBB6_925:
	s_wait_alu 0xfffe
	s_or_b32 exec_lo, exec_lo, s1
	s_branch .LBB6_929
.LBB6_926:                              ;   in Loop: Header=BB6_929 Depth=1
	s_wait_alu 0xfffe
	s_or_b32 exec_lo, exec_lo, s1
	s_delay_alu instid0(VALU_DEP_1)
	v_readfirstlane_b32 s1, v0
	s_cmp_eq_u32 s1, 0
	s_cbranch_scc1 .LBB6_928
; %bb.927:                              ;   in Loop: Header=BB6_929 Depth=1
	s_sleep 1
	s_cbranch_execnz .LBB6_929
	s_branch .LBB6_931
.LBB6_928:
	s_branch .LBB6_931
.LBB6_929:                              ; =>This Inner Loop Header: Depth=1
	v_mov_b32_e32 v0, 1
	s_and_saveexec_b32 s1, s0
	s_cbranch_execz .LBB6_926
; %bb.930:                              ;   in Loop: Header=BB6_929 Depth=1
	global_load_b32 v0, v[8:9], off offset:20 scope:SCOPE_SYS
	s_wait_loadcnt 0x0
	global_inv scope:SCOPE_SYS
	v_and_b32_e32 v0, 1, v0
	s_branch .LBB6_926
.LBB6_931:
	s_and_saveexec_b32 s6, s0
	s_cbranch_execz .LBB6_935
; %bb.932:
	v_mov_b32_e32 v6, 0
	s_clause 0x2
	global_load_b64 v[0:1], v6, s[2:3] offset:40
	global_load_b64 v[9:10], v6, s[2:3] offset:24 scope:SCOPE_SYS
	global_load_b64 v[2:3], v6, s[2:3]
	s_wait_loadcnt 0x2
	v_readfirstlane_b32 s8, v0
	v_readfirstlane_b32 s9, v1
	s_add_nc_u64 s[0:1], s[8:9], 1
	s_wait_alu 0xfffe
	s_add_nc_u64 s[4:5], s[0:1], s[4:5]
	s_wait_alu 0xfffe
	s_cmp_eq_u64 s[4:5], 0
	s_cselect_b32 s1, s1, s5
	s_cselect_b32 s0, s0, s4
	s_wait_alu 0xfffe
	v_mov_b32_e32 v8, s1
	s_and_b64 s[4:5], s[0:1], s[8:9]
	v_mov_b32_e32 v7, s0
	s_wait_alu 0xfffe
	s_mul_u64 s[4:5], s[4:5], 24
	s_wait_loadcnt 0x0
	s_wait_alu 0xfffe
	v_add_co_u32 v4, vcc_lo, v2, s4
	s_wait_alu 0xfffd
	v_add_co_ci_u32_e64 v5, null, s5, v3, vcc_lo
	global_store_b64 v[4:5], v[9:10], off
	global_wb scope:SCOPE_SYS
	s_wait_storecnt 0x0
	global_atomic_cmpswap_b64 v[2:3], v6, v[7:10], s[2:3] offset:24 th:TH_ATOMIC_RETURN scope:SCOPE_SYS
	s_wait_loadcnt 0x0
	v_cmp_ne_u64_e32 vcc_lo, v[2:3], v[9:10]
	s_and_b32 exec_lo, exec_lo, vcc_lo
	s_cbranch_execz .LBB6_935
; %bb.933:
	s_mov_b32 s4, 0
.LBB6_934:                              ; =>This Inner Loop Header: Depth=1
	v_dual_mov_b32 v0, s0 :: v_dual_mov_b32 v1, s1
	s_sleep 1
	global_store_b64 v[4:5], v[2:3], off
	global_wb scope:SCOPE_SYS
	s_wait_storecnt 0x0
	global_atomic_cmpswap_b64 v[0:1], v6, v[0:3], s[2:3] offset:24 th:TH_ATOMIC_RETURN scope:SCOPE_SYS
	s_wait_loadcnt 0x0
	v_cmp_eq_u64_e32 vcc_lo, v[0:1], v[2:3]
	v_dual_mov_b32 v3, v1 :: v_dual_mov_b32 v2, v0
	s_wait_alu 0xfffe
	s_or_b32 s4, vcc_lo, s4
	s_wait_alu 0xfffe
	s_and_not1_b32 exec_lo, exec_lo, s4
	s_cbranch_execnz .LBB6_934
.LBB6_935:
	s_wait_alu 0xfffe
	s_or_b32 exec_lo, exec_lo, s6
.LBB6_936:
	s_getpc_b64 s[0:1]
	s_wait_alu 0xfffe
	s_sext_i32_i16 s1, s1
	s_add_co_u32 s0, s0, .str.29@rel32@lo+12
	s_wait_alu 0xfffe
	s_add_co_ci_u32 s1, s1, .str.29@rel32@hi+24
	s_getpc_b64 s[2:3]
	s_wait_alu 0xfffe
	s_sext_i32_i16 s3, s3
	s_add_co_u32 s2, s2, .str.19@rel32@lo+12
	s_wait_alu 0xfffe
	s_add_co_ci_u32 s3, s3, .str.19@rel32@hi+24
	s_getpc_b64 s[4:5]
	s_wait_alu 0xfffe
	s_sext_i32_i16 s5, s5
	s_add_co_u32 s4, s4, __PRETTY_FUNCTION__._ZN7VecsMemIjLi8192EE5fetchEi@rel32@lo+12
	s_wait_alu 0xfffe
	s_add_co_ci_u32 s5, s5, __PRETTY_FUNCTION__._ZN7VecsMemIjLi8192EE5fetchEi@rel32@hi+24
	s_wait_loadcnt 0x0
	v_dual_mov_b32 v0, s0 :: v_dual_mov_b32 v1, s1
	v_dual_mov_b32 v2, s2 :: v_dual_mov_b32 v3, s3
	;; [unrolled: 1-line block ×3, first 2 shown]
	s_wait_alu 0xfffe
	v_mov_b32_e32 v6, s5
	s_getpc_b64 s[6:7]
	s_wait_alu 0xfffe
	s_sext_i32_i16 s7, s7
	s_add_co_u32 s6, s6, __assert_fail@rel32@lo+12
	s_wait_alu 0xfffe
	s_add_co_ci_u32 s7, s7, __assert_fail@rel32@hi+24
	s_mov_b64 s[8:9], s[52:53]
	s_wait_alu 0xfffe
	s_swappc_b64 s[30:31], s[6:7]
	v_readlane_b32 s0, v59, 0
	s_or_b32 s0, s0, exec_lo
.LBB6_937:
	s_or_b32 exec_lo, exec_lo, s20
	v_readlane_b32 s1, v59, 0
	s_wait_alu 0xfffe
	s_and_b32 s0, s0, exec_lo
	s_and_not1_b32 s1, s1, exec_lo
	s_wait_alu 0xfffe
	s_or_b32 s67, s1, s0
	s_or_not1_b32 s0, s19, exec_lo
.LBB6_938:
	s_wait_alu 0xfffe
	s_or_b32 exec_lo, exec_lo, s18
	s_mov_b32 s1, 0
                                        ; implicit-def: $vgpr41
	s_and_saveexec_b32 s68, s0
	s_cbranch_execz .LBB6_1307
; %bb.939:
	v_mov_b32_e32 v80, 0
	v_dual_mov_b32 v0, 0 :: v_dual_mov_b32 v81, 0
	s_mov_b32 s0, -1
	s_mov_b32 s69, s67
	s_clause 0x1
	scratch_store_b64 off, v[68:69], s33 offset:48
	scratch_store_b32 off, v0, s33 offset:60
	s_and_saveexec_b32 s18, s17
	s_cbranch_execz .LBB6_1086
; %bb.940:
	flat_load_b32 v0, v[44:45]
	v_mov_b32_e32 v80, 0
	s_mov_b32 s17, 0
	s_mov_b32 s0, exec_lo
	s_wait_loadcnt_dscnt 0x0
	v_dual_mov_b32 v81, 0 :: v_dual_add_nc_u32 v0, v0, v70
	s_delay_alu instid0(VALU_DEP_1)
	v_cmpx_gt_i32_e32 0x2001, v0
	s_wait_alu 0xfffe
	s_xor_b32 s0, exec_lo, s0
	s_cbranch_execz .LBB6_942
; %bb.941:
	v_ashrrev_i32_e32 v1, 31, v0
	v_mov_b32_e32 v71, 0
	s_mov_b32 s17, exec_lo
	flat_store_b32 v[44:45], v0
	v_lshlrev_b64_e32 v[1:2], 2, v[0:1]
	v_lshlrev_b64_e32 v[3:4], 2, v[70:71]
	s_delay_alu instid0(VALU_DEP_2) | instskip(SKIP_1) | instid1(VALU_DEP_3)
	v_add_co_u32 v1, vcc_lo, v44, v1
	s_wait_alu 0xfffd
	v_add_co_ci_u32_e64 v2, null, v45, v2, vcc_lo
	s_delay_alu instid0(VALU_DEP_2) | instskip(SKIP_1) | instid1(VALU_DEP_2)
	v_sub_co_u32 v1, vcc_lo, v1, v3
	s_wait_alu 0xfffd
	v_sub_co_ci_u32_e64 v2, null, v2, v4, vcc_lo
	s_delay_alu instid0(VALU_DEP_2) | instskip(SKIP_1) | instid1(VALU_DEP_2)
	v_add_co_u32 v80, vcc_lo, v1, 4
	s_wait_alu 0xfffd
	v_add_co_ci_u32_e64 v81, null, 0, v2, vcc_lo
.LBB6_942:
	s_wait_alu 0xfffe
	s_or_saveexec_b32 s19, s0
	s_mov_b32 s0, s67
	s_wait_alu 0xfffe
	s_xor_b32 exec_lo, exec_lo, s19
	s_cbranch_execz .LBB6_1085
; %bb.943:
	s_load_b64 s[2:3], s[52:53], 0x50
	v_mbcnt_lo_u32_b32 v31, -1, 0
	v_mov_b32_e32 v6, 0
	v_mov_b32_e32 v7, 0
	s_delay_alu instid0(VALU_DEP_3) | instskip(SKIP_1) | instid1(VALU_DEP_1)
	v_readfirstlane_b32 s0, v31
	s_wait_alu 0xf1ff
	v_cmp_eq_u32_e64 s0, s0, v31
	s_and_saveexec_b32 s1, s0
	s_cbranch_execz .LBB6_949
; %bb.944:
	v_mov_b32_e32 v0, 0
	s_mov_b32 s4, exec_lo
	s_wait_kmcnt 0x0
	global_load_b64 v[3:4], v0, s[2:3] offset:24 scope:SCOPE_SYS
	s_wait_loadcnt 0x0
	global_inv scope:SCOPE_SYS
	s_clause 0x1
	global_load_b64 v[1:2], v0, s[2:3] offset:40
	global_load_b64 v[5:6], v0, s[2:3]
	s_wait_loadcnt 0x1
	v_and_b32_e32 v2, v2, v4
	v_and_b32_e32 v1, v1, v3
	s_delay_alu instid0(VALU_DEP_2) | instskip(NEXT) | instid1(VALU_DEP_2)
	v_mul_lo_u32 v2, 24, v2
	v_mul_lo_u32 v7, 0, v1
	v_mul_hi_u32 v8, 24, v1
	v_mul_lo_u32 v1, 24, v1
	s_delay_alu instid0(VALU_DEP_3) | instskip(SKIP_1) | instid1(VALU_DEP_2)
	v_add_nc_u32_e32 v2, v2, v7
	s_wait_loadcnt 0x0
	v_add_co_u32 v1, vcc_lo, v5, v1
	s_delay_alu instid0(VALU_DEP_2) | instskip(SKIP_1) | instid1(VALU_DEP_1)
	v_add_nc_u32_e32 v2, v2, v8
	s_wait_alu 0xfffd
	v_add_co_ci_u32_e64 v2, null, v6, v2, vcc_lo
	global_load_b64 v[1:2], v[1:2], off scope:SCOPE_SYS
	s_wait_loadcnt 0x0
	global_atomic_cmpswap_b64 v[6:7], v0, v[1:4], s[2:3] offset:24 th:TH_ATOMIC_RETURN scope:SCOPE_SYS
	s_wait_loadcnt 0x0
	global_inv scope:SCOPE_SYS
	v_cmpx_ne_u64_e64 v[6:7], v[3:4]
	s_cbranch_execz .LBB6_948
; %bb.945:
	s_mov_b32 s5, 0
.LBB6_946:                              ; =>This Inner Loop Header: Depth=1
	s_sleep 1
	s_clause 0x1
	global_load_b64 v[1:2], v0, s[2:3] offset:40
	global_load_b64 v[8:9], v0, s[2:3]
	v_dual_mov_b32 v3, v6 :: v_dual_mov_b32 v4, v7
	s_wait_loadcnt 0x1
	s_delay_alu instid0(VALU_DEP_1) | instskip(NEXT) | instid1(VALU_DEP_2)
	v_and_b32_e32 v1, v1, v3
	v_and_b32_e32 v2, v2, v4
	s_wait_loadcnt 0x0
	s_delay_alu instid0(VALU_DEP_2) | instskip(NEXT) | instid1(VALU_DEP_1)
	v_mad_co_u64_u32 v[5:6], null, v1, 24, v[8:9]
	v_mov_b32_e32 v1, v6
	s_delay_alu instid0(VALU_DEP_1) | instskip(NEXT) | instid1(VALU_DEP_1)
	v_mad_co_u64_u32 v[1:2], null, v2, 24, v[1:2]
	v_mov_b32_e32 v6, v1
	global_load_b64 v[1:2], v[5:6], off scope:SCOPE_SYS
	s_wait_loadcnt 0x0
	global_atomic_cmpswap_b64 v[6:7], v0, v[1:4], s[2:3] offset:24 th:TH_ATOMIC_RETURN scope:SCOPE_SYS
	s_wait_loadcnt 0x0
	global_inv scope:SCOPE_SYS
	v_cmp_eq_u64_e32 vcc_lo, v[6:7], v[3:4]
	s_wait_alu 0xfffe
	s_or_b32 s5, vcc_lo, s5
	s_wait_alu 0xfffe
	s_and_not1_b32 exec_lo, exec_lo, s5
	s_cbranch_execnz .LBB6_946
; %bb.947:
	s_or_b32 exec_lo, exec_lo, s5
.LBB6_948:
	s_wait_alu 0xfffe
	s_or_b32 exec_lo, exec_lo, s4
.LBB6_949:
	s_wait_alu 0xfffe
	s_or_b32 exec_lo, exec_lo, s1
	v_readfirstlane_b32 s4, v6
	v_mov_b32_e32 v5, 0
	v_readfirstlane_b32 s5, v7
	s_mov_b32 s1, exec_lo
	s_wait_kmcnt 0x0
	s_clause 0x1
	global_load_b64 v[8:9], v5, s[2:3] offset:40
	global_load_b128 v[0:3], v5, s[2:3]
	s_wait_loadcnt 0x1
	s_wait_alu 0xf1ff
	v_and_b32_e32 v11, s5, v9
	v_and_b32_e32 v10, s4, v8
	s_delay_alu instid0(VALU_DEP_2) | instskip(NEXT) | instid1(VALU_DEP_2)
	v_mul_lo_u32 v4, 24, v11
	v_mul_lo_u32 v6, 0, v10
	v_mul_hi_u32 v7, 24, v10
	v_mul_lo_u32 v8, 24, v10
	s_delay_alu instid0(VALU_DEP_3) | instskip(SKIP_1) | instid1(VALU_DEP_2)
	v_add_nc_u32_e32 v4, v4, v6
	s_wait_loadcnt 0x0
	v_add_co_u32 v8, vcc_lo, v0, v8
	s_delay_alu instid0(VALU_DEP_2) | instskip(SKIP_1) | instid1(VALU_DEP_1)
	v_add_nc_u32_e32 v4, v4, v7
	s_wait_alu 0xfffd
	v_add_co_ci_u32_e64 v9, null, v1, v4, vcc_lo
	s_and_saveexec_b32 s6, s0
	s_cbranch_execz .LBB6_951
; %bb.950:
	s_wait_alu 0xfffe
	v_dual_mov_b32 v4, s1 :: v_dual_mov_b32 v7, 1
	v_mov_b32_e32 v6, 2
	global_store_b128 v[8:9], v[4:7], off offset:8
.LBB6_951:
	s_wait_alu 0xfffe
	s_or_b32 exec_lo, exec_lo, s6
	v_lshlrev_b64_e32 v[10:11], 12, v[10:11]
	v_dual_mov_b32 v7, v5 :: v_dual_lshlrev_b32 v30, 6, v31
	s_mov_b32 s8, 0
	s_wait_alu 0xfffe
	s_mov_b32 s11, s8
	s_delay_alu instid0(VALU_DEP_2)
	v_add_co_u32 v2, vcc_lo, v2, v10
	s_wait_alu 0xfffd
	v_add_co_ci_u32_e64 v3, null, v3, v11, vcc_lo
	s_mov_b32 s9, s8
	v_add_co_u32 v10, vcc_lo, v2, v30
	s_mov_b32 s10, s8
	s_wait_alu 0xfffe
	v_dual_mov_b32 v4, 33 :: v_dual_mov_b32 v15, s11
	v_dual_mov_b32 v6, v5 :: v_dual_mov_b32 v13, s9
	v_readfirstlane_b32 s6, v2
	v_readfirstlane_b32 s7, v3
	s_wait_alu 0xfffd
	v_add_co_ci_u32_e64 v11, null, 0, v3, vcc_lo
	v_mov_b32_e32 v14, s10
	v_mov_b32_e32 v12, s8
	s_clause 0x3
	global_store_b128 v30, v[4:7], s[6:7]
	global_store_b128 v30, v[12:15], s[6:7] offset:16
	global_store_b128 v30, v[12:15], s[6:7] offset:32
	;; [unrolled: 1-line block ×3, first 2 shown]
	s_and_saveexec_b32 s1, s0
	s_cbranch_execz .LBB6_959
; %bb.952:
	v_mov_b32_e32 v6, 0
	s_mov_b32 s6, exec_lo
	s_clause 0x1
	global_load_b64 v[14:15], v6, s[2:3] offset:32 scope:SCOPE_SYS
	global_load_b64 v[2:3], v6, s[2:3] offset:40
	v_dual_mov_b32 v13, s5 :: v_dual_mov_b32 v12, s4
	s_wait_loadcnt 0x0
	v_and_b32_e32 v3, s5, v3
	v_and_b32_e32 v2, s4, v2
	s_delay_alu instid0(VALU_DEP_2) | instskip(NEXT) | instid1(VALU_DEP_2)
	v_mul_lo_u32 v3, 24, v3
	v_mul_lo_u32 v4, 0, v2
	v_mul_hi_u32 v5, 24, v2
	v_mul_lo_u32 v2, 24, v2
	s_delay_alu instid0(VALU_DEP_3) | instskip(NEXT) | instid1(VALU_DEP_2)
	v_add_nc_u32_e32 v3, v3, v4
	v_add_co_u32 v4, vcc_lo, v0, v2
	s_delay_alu instid0(VALU_DEP_2) | instskip(SKIP_1) | instid1(VALU_DEP_1)
	v_add_nc_u32_e32 v3, v3, v5
	s_wait_alu 0xfffd
	v_add_co_ci_u32_e64 v5, null, v1, v3, vcc_lo
	global_store_b64 v[4:5], v[14:15], off
	global_wb scope:SCOPE_SYS
	s_wait_storecnt 0x0
	global_atomic_cmpswap_b64 v[2:3], v6, v[12:15], s[2:3] offset:32 th:TH_ATOMIC_RETURN scope:SCOPE_SYS
	s_wait_loadcnt 0x0
	v_cmpx_ne_u64_e64 v[2:3], v[14:15]
	s_cbranch_execz .LBB6_955
; %bb.953:
	s_mov_b32 s7, 0
.LBB6_954:                              ; =>This Inner Loop Header: Depth=1
	v_dual_mov_b32 v0, s4 :: v_dual_mov_b32 v1, s5
	s_sleep 1
	global_store_b64 v[4:5], v[2:3], off
	global_wb scope:SCOPE_SYS
	s_wait_storecnt 0x0
	global_atomic_cmpswap_b64 v[0:1], v6, v[0:3], s[2:3] offset:32 th:TH_ATOMIC_RETURN scope:SCOPE_SYS
	s_wait_loadcnt 0x0
	v_cmp_eq_u64_e32 vcc_lo, v[0:1], v[2:3]
	v_dual_mov_b32 v3, v1 :: v_dual_mov_b32 v2, v0
	s_wait_alu 0xfffe
	s_or_b32 s7, vcc_lo, s7
	s_wait_alu 0xfffe
	s_and_not1_b32 exec_lo, exec_lo, s7
	s_cbranch_execnz .LBB6_954
.LBB6_955:
	s_wait_alu 0xfffe
	s_or_b32 exec_lo, exec_lo, s6
	v_mov_b32_e32 v3, 0
	s_mov_b32 s7, exec_lo
	s_mov_b32 s6, exec_lo
	s_wait_alu 0xfffe
	v_mbcnt_lo_u32_b32 v2, s7, 0
	global_load_b64 v[0:1], v3, s[2:3] offset:16
	v_cmpx_eq_u32_e32 0, v2
	s_cbranch_execz .LBB6_957
; %bb.956:
	s_bcnt1_i32_b32 s7, s7
	s_wait_alu 0xfffe
	v_mov_b32_e32 v2, s7
	global_wb scope:SCOPE_SYS
	s_wait_loadcnt 0x0
	s_wait_storecnt 0x0
	global_atomic_add_u64 v[0:1], v[2:3], off offset:8 scope:SCOPE_SYS
.LBB6_957:
	s_or_b32 exec_lo, exec_lo, s6
	s_wait_loadcnt 0x0
	global_load_b64 v[2:3], v[0:1], off offset:16
	s_wait_loadcnt 0x0
	v_cmp_eq_u64_e32 vcc_lo, 0, v[2:3]
	s_cbranch_vccnz .LBB6_959
; %bb.958:
	global_load_b32 v0, v[0:1], off offset:24
	v_mov_b32_e32 v1, 0
	s_wait_loadcnt 0x0
	v_readfirstlane_b32 s6, v0
	global_wb scope:SCOPE_SYS
	s_wait_storecnt 0x0
	global_store_b64 v[2:3], v[0:1], off scope:SCOPE_SYS
	s_and_b32 m0, s6, 0xffffff
	s_sendmsg sendmsg(MSG_INTERRUPT)
.LBB6_959:
	s_wait_alu 0xfffe
	s_or_b32 exec_lo, exec_lo, s1
	s_branch .LBB6_963
.LBB6_960:                              ;   in Loop: Header=BB6_963 Depth=1
	s_wait_alu 0xfffe
	s_or_b32 exec_lo, exec_lo, s1
	s_delay_alu instid0(VALU_DEP_1)
	v_readfirstlane_b32 s1, v0
	s_cmp_eq_u32 s1, 0
	s_cbranch_scc1 .LBB6_962
; %bb.961:                              ;   in Loop: Header=BB6_963 Depth=1
	s_sleep 1
	s_cbranch_execnz .LBB6_963
	s_branch .LBB6_965
.LBB6_962:
	s_branch .LBB6_965
.LBB6_963:                              ; =>This Inner Loop Header: Depth=1
	v_mov_b32_e32 v0, 1
	s_and_saveexec_b32 s1, s0
	s_cbranch_execz .LBB6_960
; %bb.964:                              ;   in Loop: Header=BB6_963 Depth=1
	global_load_b32 v0, v[8:9], off offset:20 scope:SCOPE_SYS
	s_wait_loadcnt 0x0
	global_inv scope:SCOPE_SYS
	v_and_b32_e32 v0, 1, v0
	s_branch .LBB6_960
.LBB6_965:
	global_load_b64 v[0:1], v[10:11], off
	s_and_saveexec_b32 s6, s0
	s_cbranch_execz .LBB6_969
; %bb.966:
	v_mov_b32_e32 v8, 0
	s_clause 0x2
	global_load_b64 v[2:3], v8, s[2:3] offset:40
	global_load_b64 v[11:12], v8, s[2:3] offset:24 scope:SCOPE_SYS
	global_load_b64 v[4:5], v8, s[2:3]
	s_wait_loadcnt 0x2
	v_readfirstlane_b32 s8, v2
	v_readfirstlane_b32 s9, v3
	s_add_nc_u64 s[0:1], s[8:9], 1
	s_wait_alu 0xfffe
	s_add_nc_u64 s[4:5], s[0:1], s[4:5]
	s_wait_alu 0xfffe
	s_cmp_eq_u64 s[4:5], 0
	s_cselect_b32 s1, s1, s5
	s_cselect_b32 s0, s0, s4
	s_wait_alu 0xfffe
	v_mov_b32_e32 v10, s1
	s_and_b64 s[4:5], s[0:1], s[8:9]
	v_mov_b32_e32 v9, s0
	s_wait_alu 0xfffe
	s_mul_u64 s[4:5], s[4:5], 24
	s_wait_loadcnt 0x0
	s_wait_alu 0xfffe
	v_add_co_u32 v6, vcc_lo, v4, s4
	s_wait_alu 0xfffd
	v_add_co_ci_u32_e64 v7, null, s5, v5, vcc_lo
	global_store_b64 v[6:7], v[11:12], off
	global_wb scope:SCOPE_SYS
	s_wait_storecnt 0x0
	global_atomic_cmpswap_b64 v[4:5], v8, v[9:12], s[2:3] offset:24 th:TH_ATOMIC_RETURN scope:SCOPE_SYS
	s_wait_loadcnt 0x0
	v_cmp_ne_u64_e32 vcc_lo, v[4:5], v[11:12]
	s_and_b32 exec_lo, exec_lo, vcc_lo
	s_cbranch_execz .LBB6_969
; %bb.967:
	s_mov_b32 s4, 0
.LBB6_968:                              ; =>This Inner Loop Header: Depth=1
	v_dual_mov_b32 v2, s0 :: v_dual_mov_b32 v3, s1
	s_sleep 1
	global_store_b64 v[6:7], v[4:5], off
	global_wb scope:SCOPE_SYS
	s_wait_storecnt 0x0
	global_atomic_cmpswap_b64 v[2:3], v8, v[2:5], s[2:3] offset:24 th:TH_ATOMIC_RETURN scope:SCOPE_SYS
	s_wait_loadcnt 0x0
	v_cmp_eq_u64_e32 vcc_lo, v[2:3], v[4:5]
	v_dual_mov_b32 v5, v3 :: v_dual_mov_b32 v4, v2
	s_wait_alu 0xfffe
	s_or_b32 s4, vcc_lo, s4
	s_wait_alu 0xfffe
	s_and_not1_b32 exec_lo, exec_lo, s4
	s_cbranch_execnz .LBB6_968
.LBB6_969:
	s_wait_alu 0xfffe
	s_or_b32 exec_lo, exec_lo, s6
	s_getpc_b64 s[4:5]
	s_wait_alu 0xfffe
	s_sext_i32_i16 s5, s5
	s_add_co_u32 s4, s4, .str.28@rel32@lo+12
	s_wait_alu 0xfffe
	s_add_co_ci_u32 s5, s5, .str.28@rel32@hi+24
	s_wait_alu 0xfffe
	s_cmp_lg_u64 s[4:5], 0
	s_cbranch_scc0 .LBB6_1055
; %bb.970:
	s_wait_loadcnt 0x0
	v_dual_mov_b32 v7, v1 :: v_dual_and_b32 v6, -3, v0
	v_dual_mov_b32 v3, 0 :: v_dual_mov_b32 v4, 2
	v_mov_b32_e32 v5, 1
	s_mov_b64 s[6:7], 35
	s_branch .LBB6_972
.LBB6_971:                              ;   in Loop: Header=BB6_972 Depth=1
	s_wait_alu 0xfffe
	s_or_b32 exec_lo, exec_lo, s12
	s_sub_nc_u64 s[6:7], s[6:7], s[8:9]
	s_add_nc_u64 s[4:5], s[4:5], s[8:9]
	s_wait_alu 0xfffe
	s_cmp_lg_u64 s[6:7], 0
	s_cbranch_scc0 .LBB6_1054
.LBB6_972:                              ; =>This Loop Header: Depth=1
                                        ;     Child Loop BB6_975 Depth 2
                                        ;     Child Loop BB6_983 Depth 2
	;; [unrolled: 1-line block ×11, first 2 shown]
	s_wait_alu 0xfffe
	v_cmp_lt_u64_e64 s0, s[6:7], 56
	v_cmp_gt_u64_e64 s1, s[6:7], 7
	s_and_b32 s0, s0, exec_lo
	s_cselect_b32 s9, s7, 0
	s_cselect_b32 s8, s6, 56
	s_and_b32 vcc_lo, exec_lo, s1
	s_wait_alu 0xfffe
	s_cbranch_vccnz .LBB6_977
; %bb.973:                              ;   in Loop: Header=BB6_972 Depth=1
	s_wait_loadcnt 0x0
	v_mov_b32_e32 v8, 0
	v_mov_b32_e32 v9, 0
	s_cmp_eq_u64 s[6:7], 0
	s_cbranch_scc1 .LBB6_976
; %bb.974:                              ;   in Loop: Header=BB6_972 Depth=1
	s_mov_b64 s[0:1], 0
	s_mov_b64 s[10:11], 0
.LBB6_975:                              ;   Parent Loop BB6_972 Depth=1
                                        ; =>  This Inner Loop Header: Depth=2
	s_wait_alu 0xfffe
	s_add_nc_u64 s[12:13], s[4:5], s[10:11]
	s_add_nc_u64 s[10:11], s[10:11], 1
	global_load_u8 v2, v3, s[12:13]
	s_wait_alu 0xfffe
	s_cmp_lg_u32 s8, s10
	s_wait_loadcnt 0x0
	v_and_b32_e32 v2, 0xffff, v2
	s_delay_alu instid0(VALU_DEP_1) | instskip(SKIP_1) | instid1(VALU_DEP_1)
	v_lshlrev_b64_e32 v[10:11], s0, v[2:3]
	s_add_nc_u64 s[0:1], s[0:1], 8
	v_or_b32_e32 v8, v10, v8
	s_delay_alu instid0(VALU_DEP_2)
	v_or_b32_e32 v9, v11, v9
	s_cbranch_scc1 .LBB6_975
.LBB6_976:                              ;   in Loop: Header=BB6_972 Depth=1
	s_mov_b32 s0, 0
	s_mov_b64 s[10:11], s[4:5]
	s_branch .LBB6_978
.LBB6_977:                              ;   in Loop: Header=BB6_972 Depth=1
	s_add_nc_u64 s[10:11], s[4:5], 8
	s_mov_b32 s0, -1
.LBB6_978:                              ;   in Loop: Header=BB6_972 Depth=1
	s_wait_alu 0xfffe
	s_and_not1_b32 vcc_lo, exec_lo, s0
	s_mov_b32 s14, 0
	s_wait_alu 0xfffe
	s_cbranch_vccnz .LBB6_980
; %bb.979:                              ;   in Loop: Header=BB6_972 Depth=1
	s_wait_loadcnt 0x0
	global_load_b64 v[8:9], v3, s[4:5]
	s_add_co_i32 s14, s8, -8
.LBB6_980:                              ;   in Loop: Header=BB6_972 Depth=1
	s_wait_alu 0xfffe
	s_cmp_gt_u32 s14, 7
	s_cbranch_scc1 .LBB6_985
; %bb.981:                              ;   in Loop: Header=BB6_972 Depth=1
	v_mov_b32_e32 v10, 0
	v_mov_b32_e32 v11, 0
	s_cmp_eq_u32 s14, 0
	s_cbranch_scc1 .LBB6_984
; %bb.982:                              ;   in Loop: Header=BB6_972 Depth=1
	s_mov_b64 s[0:1], 0
	s_mov_b64 s[12:13], 0
.LBB6_983:                              ;   Parent Loop BB6_972 Depth=1
                                        ; =>  This Inner Loop Header: Depth=2
	s_wait_alu 0xfffe
	s_add_nc_u64 s[20:21], s[10:11], s[12:13]
	s_add_nc_u64 s[12:13], s[12:13], 1
	global_load_u8 v2, v3, s[20:21]
	s_wait_alu 0xfffe
	s_cmp_lg_u32 s14, s12
	s_wait_loadcnt 0x0
	v_and_b32_e32 v2, 0xffff, v2
	s_delay_alu instid0(VALU_DEP_1) | instskip(SKIP_1) | instid1(VALU_DEP_1)
	v_lshlrev_b64_e32 v[12:13], s0, v[2:3]
	s_add_nc_u64 s[0:1], s[0:1], 8
	v_or_b32_e32 v10, v12, v10
	s_delay_alu instid0(VALU_DEP_2)
	v_or_b32_e32 v11, v13, v11
	s_cbranch_scc1 .LBB6_983
.LBB6_984:                              ;   in Loop: Header=BB6_972 Depth=1
	s_mov_b32 s12, 0
	s_mov_b64 s[0:1], s[10:11]
	s_branch .LBB6_986
.LBB6_985:                              ;   in Loop: Header=BB6_972 Depth=1
	s_add_nc_u64 s[0:1], s[10:11], 8
	s_mov_b32 s12, -1
                                        ; implicit-def: $vgpr10_vgpr11
.LBB6_986:                              ;   in Loop: Header=BB6_972 Depth=1
	s_wait_alu 0xfffe
	s_and_not1_b32 vcc_lo, exec_lo, s12
	s_mov_b32 s15, 0
	s_wait_alu 0xfffe
	s_cbranch_vccnz .LBB6_988
; %bb.987:                              ;   in Loop: Header=BB6_972 Depth=1
	global_load_b64 v[10:11], v3, s[10:11]
	s_add_co_i32 s15, s14, -8
.LBB6_988:                              ;   in Loop: Header=BB6_972 Depth=1
	s_wait_alu 0xfffe
	s_cmp_gt_u32 s15, 7
	s_cbranch_scc1 .LBB6_993
; %bb.989:                              ;   in Loop: Header=BB6_972 Depth=1
	v_mov_b32_e32 v12, 0
	v_mov_b32_e32 v13, 0
	s_cmp_eq_u32 s15, 0
	s_cbranch_scc1 .LBB6_992
; %bb.990:                              ;   in Loop: Header=BB6_972 Depth=1
	s_mov_b64 s[10:11], 0
	s_mov_b64 s[12:13], 0
.LBB6_991:                              ;   Parent Loop BB6_972 Depth=1
                                        ; =>  This Inner Loop Header: Depth=2
	s_wait_alu 0xfffe
	s_add_nc_u64 s[20:21], s[0:1], s[12:13]
	s_add_nc_u64 s[12:13], s[12:13], 1
	global_load_u8 v2, v3, s[20:21]
	s_wait_alu 0xfffe
	s_cmp_lg_u32 s15, s12
	s_wait_loadcnt 0x0
	v_and_b32_e32 v2, 0xffff, v2
	s_delay_alu instid0(VALU_DEP_1) | instskip(SKIP_1) | instid1(VALU_DEP_1)
	v_lshlrev_b64_e32 v[14:15], s10, v[2:3]
	s_add_nc_u64 s[10:11], s[10:11], 8
	v_or_b32_e32 v12, v14, v12
	s_delay_alu instid0(VALU_DEP_2)
	v_or_b32_e32 v13, v15, v13
	s_cbranch_scc1 .LBB6_991
.LBB6_992:                              ;   in Loop: Header=BB6_972 Depth=1
	s_mov_b32 s12, 0
	s_mov_b64 s[10:11], s[0:1]
	s_branch .LBB6_994
.LBB6_993:                              ;   in Loop: Header=BB6_972 Depth=1
	s_add_nc_u64 s[10:11], s[0:1], 8
	s_mov_b32 s12, -1
.LBB6_994:                              ;   in Loop: Header=BB6_972 Depth=1
	s_wait_alu 0xfffe
	s_and_not1_b32 vcc_lo, exec_lo, s12
	s_mov_b32 s14, 0
	s_wait_alu 0xfffe
	s_cbranch_vccnz .LBB6_996
; %bb.995:                              ;   in Loop: Header=BB6_972 Depth=1
	global_load_b64 v[12:13], v3, s[0:1]
	s_add_co_i32 s14, s15, -8
.LBB6_996:                              ;   in Loop: Header=BB6_972 Depth=1
	s_wait_alu 0xfffe
	s_cmp_gt_u32 s14, 7
	s_cbranch_scc1 .LBB6_1001
; %bb.997:                              ;   in Loop: Header=BB6_972 Depth=1
	v_mov_b32_e32 v14, 0
	v_mov_b32_e32 v15, 0
	s_cmp_eq_u32 s14, 0
	s_cbranch_scc1 .LBB6_1000
; %bb.998:                              ;   in Loop: Header=BB6_972 Depth=1
	s_mov_b64 s[0:1], 0
	s_mov_b64 s[12:13], 0
.LBB6_999:                              ;   Parent Loop BB6_972 Depth=1
                                        ; =>  This Inner Loop Header: Depth=2
	s_wait_alu 0xfffe
	s_add_nc_u64 s[20:21], s[10:11], s[12:13]
	s_add_nc_u64 s[12:13], s[12:13], 1
	global_load_u8 v2, v3, s[20:21]
	s_wait_alu 0xfffe
	s_cmp_lg_u32 s14, s12
	s_wait_loadcnt 0x0
	v_and_b32_e32 v2, 0xffff, v2
	s_delay_alu instid0(VALU_DEP_1) | instskip(SKIP_1) | instid1(VALU_DEP_1)
	v_lshlrev_b64_e32 v[16:17], s0, v[2:3]
	s_add_nc_u64 s[0:1], s[0:1], 8
	v_or_b32_e32 v14, v16, v14
	s_delay_alu instid0(VALU_DEP_2)
	v_or_b32_e32 v15, v17, v15
	s_cbranch_scc1 .LBB6_999
.LBB6_1000:                             ;   in Loop: Header=BB6_972 Depth=1
	s_mov_b32 s12, 0
	s_mov_b64 s[0:1], s[10:11]
	s_branch .LBB6_1002
.LBB6_1001:                             ;   in Loop: Header=BB6_972 Depth=1
	s_add_nc_u64 s[0:1], s[10:11], 8
	s_mov_b32 s12, -1
                                        ; implicit-def: $vgpr14_vgpr15
.LBB6_1002:                             ;   in Loop: Header=BB6_972 Depth=1
	s_wait_alu 0xfffe
	s_and_not1_b32 vcc_lo, exec_lo, s12
	s_mov_b32 s15, 0
	s_wait_alu 0xfffe
	s_cbranch_vccnz .LBB6_1004
; %bb.1003:                             ;   in Loop: Header=BB6_972 Depth=1
	global_load_b64 v[14:15], v3, s[10:11]
	s_add_co_i32 s15, s14, -8
.LBB6_1004:                             ;   in Loop: Header=BB6_972 Depth=1
	s_wait_alu 0xfffe
	s_cmp_gt_u32 s15, 7
	s_cbranch_scc1 .LBB6_1009
; %bb.1005:                             ;   in Loop: Header=BB6_972 Depth=1
	v_mov_b32_e32 v16, 0
	v_mov_b32_e32 v17, 0
	s_cmp_eq_u32 s15, 0
	s_cbranch_scc1 .LBB6_1008
; %bb.1006:                             ;   in Loop: Header=BB6_972 Depth=1
	s_mov_b64 s[10:11], 0
	s_mov_b64 s[12:13], 0
.LBB6_1007:                             ;   Parent Loop BB6_972 Depth=1
                                        ; =>  This Inner Loop Header: Depth=2
	s_wait_alu 0xfffe
	s_add_nc_u64 s[20:21], s[0:1], s[12:13]
	s_add_nc_u64 s[12:13], s[12:13], 1
	global_load_u8 v2, v3, s[20:21]
	s_wait_alu 0xfffe
	s_cmp_lg_u32 s15, s12
	s_wait_loadcnt 0x0
	v_and_b32_e32 v2, 0xffff, v2
	s_delay_alu instid0(VALU_DEP_1) | instskip(SKIP_1) | instid1(VALU_DEP_1)
	v_lshlrev_b64_e32 v[18:19], s10, v[2:3]
	s_add_nc_u64 s[10:11], s[10:11], 8
	v_or_b32_e32 v16, v18, v16
	s_delay_alu instid0(VALU_DEP_2)
	v_or_b32_e32 v17, v19, v17
	s_cbranch_scc1 .LBB6_1007
.LBB6_1008:                             ;   in Loop: Header=BB6_972 Depth=1
	s_mov_b32 s12, 0
	s_mov_b64 s[10:11], s[0:1]
	s_branch .LBB6_1010
.LBB6_1009:                             ;   in Loop: Header=BB6_972 Depth=1
	s_add_nc_u64 s[10:11], s[0:1], 8
	s_mov_b32 s12, -1
.LBB6_1010:                             ;   in Loop: Header=BB6_972 Depth=1
	s_wait_alu 0xfffe
	s_and_not1_b32 vcc_lo, exec_lo, s12
	s_mov_b32 s14, 0
	s_wait_alu 0xfffe
	s_cbranch_vccnz .LBB6_1012
; %bb.1011:                             ;   in Loop: Header=BB6_972 Depth=1
	global_load_b64 v[16:17], v3, s[0:1]
	s_add_co_i32 s14, s15, -8
.LBB6_1012:                             ;   in Loop: Header=BB6_972 Depth=1
	s_wait_alu 0xfffe
	s_cmp_gt_u32 s14, 7
	s_cbranch_scc1 .LBB6_1017
; %bb.1013:                             ;   in Loop: Header=BB6_972 Depth=1
	v_mov_b32_e32 v18, 0
	v_mov_b32_e32 v19, 0
	s_cmp_eq_u32 s14, 0
	s_cbranch_scc1 .LBB6_1016
; %bb.1014:                             ;   in Loop: Header=BB6_972 Depth=1
	s_mov_b64 s[0:1], 0
	s_mov_b64 s[12:13], 0
.LBB6_1015:                             ;   Parent Loop BB6_972 Depth=1
                                        ; =>  This Inner Loop Header: Depth=2
	s_wait_alu 0xfffe
	s_add_nc_u64 s[20:21], s[10:11], s[12:13]
	s_add_nc_u64 s[12:13], s[12:13], 1
	global_load_u8 v2, v3, s[20:21]
	s_wait_alu 0xfffe
	s_cmp_lg_u32 s14, s12
	s_wait_loadcnt 0x0
	v_and_b32_e32 v2, 0xffff, v2
	s_delay_alu instid0(VALU_DEP_1) | instskip(SKIP_1) | instid1(VALU_DEP_1)
	v_lshlrev_b64_e32 v[20:21], s0, v[2:3]
	s_add_nc_u64 s[0:1], s[0:1], 8
	v_or_b32_e32 v18, v20, v18
	s_delay_alu instid0(VALU_DEP_2)
	v_or_b32_e32 v19, v21, v19
	s_cbranch_scc1 .LBB6_1015
.LBB6_1016:                             ;   in Loop: Header=BB6_972 Depth=1
	s_mov_b32 s12, 0
	s_mov_b64 s[0:1], s[10:11]
	s_branch .LBB6_1018
.LBB6_1017:                             ;   in Loop: Header=BB6_972 Depth=1
	s_add_nc_u64 s[0:1], s[10:11], 8
	s_mov_b32 s12, -1
                                        ; implicit-def: $vgpr18_vgpr19
.LBB6_1018:                             ;   in Loop: Header=BB6_972 Depth=1
	s_wait_alu 0xfffe
	s_and_not1_b32 vcc_lo, exec_lo, s12
	s_mov_b32 s15, 0
	s_wait_alu 0xfffe
	s_cbranch_vccnz .LBB6_1020
; %bb.1019:                             ;   in Loop: Header=BB6_972 Depth=1
	global_load_b64 v[18:19], v3, s[10:11]
	s_add_co_i32 s15, s14, -8
.LBB6_1020:                             ;   in Loop: Header=BB6_972 Depth=1
	s_wait_alu 0xfffe
	s_cmp_gt_u32 s15, 7
	s_cbranch_scc1 .LBB6_1025
; %bb.1021:                             ;   in Loop: Header=BB6_972 Depth=1
	v_mov_b32_e32 v20, 0
	v_mov_b32_e32 v21, 0
	s_cmp_eq_u32 s15, 0
	s_cbranch_scc1 .LBB6_1024
; %bb.1022:                             ;   in Loop: Header=BB6_972 Depth=1
	s_mov_b64 s[10:11], 0
	s_mov_b64 s[12:13], s[0:1]
.LBB6_1023:                             ;   Parent Loop BB6_972 Depth=1
                                        ; =>  This Inner Loop Header: Depth=2
	global_load_u8 v2, v3, s[12:13]
	s_add_co_i32 s15, s15, -1
	s_wait_alu 0xfffe
	s_add_nc_u64 s[12:13], s[12:13], 1
	s_cmp_lg_u32 s15, 0
	s_wait_loadcnt 0x0
	v_and_b32_e32 v2, 0xffff, v2
	s_delay_alu instid0(VALU_DEP_1) | instskip(SKIP_1) | instid1(VALU_DEP_1)
	v_lshlrev_b64_e32 v[22:23], s10, v[2:3]
	s_add_nc_u64 s[10:11], s[10:11], 8
	v_or_b32_e32 v20, v22, v20
	s_delay_alu instid0(VALU_DEP_2)
	v_or_b32_e32 v21, v23, v21
	s_cbranch_scc1 .LBB6_1023
.LBB6_1024:                             ;   in Loop: Header=BB6_972 Depth=1
	s_mov_b32 s10, 0
	s_branch .LBB6_1026
.LBB6_1025:                             ;   in Loop: Header=BB6_972 Depth=1
	s_mov_b32 s10, -1
.LBB6_1026:                             ;   in Loop: Header=BB6_972 Depth=1
	s_wait_alu 0xfffe
	s_and_not1_b32 vcc_lo, exec_lo, s10
	s_wait_alu 0xfffe
	s_cbranch_vccnz .LBB6_1028
; %bb.1027:                             ;   in Loop: Header=BB6_972 Depth=1
	global_load_b64 v[20:21], v3, s[0:1]
.LBB6_1028:                             ;   in Loop: Header=BB6_972 Depth=1
	v_readfirstlane_b32 s0, v31
	v_mov_b32_e32 v26, 0
	v_mov_b32_e32 v27, 0
	s_wait_alu 0xf1ff
	s_delay_alu instid0(VALU_DEP_3)
	v_cmp_eq_u32_e64 s0, s0, v31
	s_and_saveexec_b32 s1, s0
	s_cbranch_execz .LBB6_1034
; %bb.1029:                             ;   in Loop: Header=BB6_972 Depth=1
	global_load_b64 v[24:25], v3, s[2:3] offset:24 scope:SCOPE_SYS
	s_wait_loadcnt 0x0
	global_inv scope:SCOPE_SYS
	s_clause 0x1
	global_load_b64 v[22:23], v3, s[2:3] offset:40
	global_load_b64 v[26:27], v3, s[2:3]
	s_mov_b32 s10, exec_lo
	s_wait_loadcnt 0x1
	v_and_b32_e32 v2, v23, v25
	v_and_b32_e32 v22, v22, v24
	s_delay_alu instid0(VALU_DEP_2) | instskip(NEXT) | instid1(VALU_DEP_2)
	v_mul_lo_u32 v2, 24, v2
	v_mul_lo_u32 v23, 0, v22
	v_mul_hi_u32 v28, 24, v22
	v_mul_lo_u32 v22, 24, v22
	s_delay_alu instid0(VALU_DEP_3) | instskip(SKIP_1) | instid1(VALU_DEP_2)
	v_add_nc_u32_e32 v2, v2, v23
	s_wait_loadcnt 0x0
	v_add_co_u32 v22, vcc_lo, v26, v22
	s_delay_alu instid0(VALU_DEP_2) | instskip(SKIP_1) | instid1(VALU_DEP_1)
	v_add_nc_u32_e32 v2, v2, v28
	s_wait_alu 0xfffd
	v_add_co_ci_u32_e64 v23, null, v27, v2, vcc_lo
	global_load_b64 v[22:23], v[22:23], off scope:SCOPE_SYS
	s_wait_loadcnt 0x0
	global_atomic_cmpswap_b64 v[26:27], v3, v[22:25], s[2:3] offset:24 th:TH_ATOMIC_RETURN scope:SCOPE_SYS
	s_wait_loadcnt 0x0
	global_inv scope:SCOPE_SYS
	v_cmpx_ne_u64_e64 v[26:27], v[24:25]
	s_cbranch_execz .LBB6_1033
; %bb.1030:                             ;   in Loop: Header=BB6_972 Depth=1
	s_mov_b32 s11, 0
.LBB6_1031:                             ;   Parent Loop BB6_972 Depth=1
                                        ; =>  This Inner Loop Header: Depth=2
	s_sleep 1
	s_clause 0x1
	global_load_b64 v[22:23], v3, s[2:3] offset:40
	global_load_b64 v[28:29], v3, s[2:3]
	v_dual_mov_b32 v24, v26 :: v_dual_mov_b32 v25, v27
	s_wait_loadcnt 0x1
	s_delay_alu instid0(VALU_DEP_1) | instskip(NEXT) | instid1(VALU_DEP_2)
	v_and_b32_e32 v2, v22, v24
	v_and_b32_e32 v22, v23, v25
	s_wait_loadcnt 0x0
	s_delay_alu instid0(VALU_DEP_2) | instskip(NEXT) | instid1(VALU_DEP_1)
	v_mad_co_u64_u32 v[26:27], null, v2, 24, v[28:29]
	v_mov_b32_e32 v2, v27
	s_delay_alu instid0(VALU_DEP_1) | instskip(NEXT) | instid1(VALU_DEP_1)
	v_mad_co_u64_u32 v[22:23], null, v22, 24, v[2:3]
	v_mov_b32_e32 v27, v22
	global_load_b64 v[22:23], v[26:27], off scope:SCOPE_SYS
	s_wait_loadcnt 0x0
	global_atomic_cmpswap_b64 v[26:27], v3, v[22:25], s[2:3] offset:24 th:TH_ATOMIC_RETURN scope:SCOPE_SYS
	s_wait_loadcnt 0x0
	global_inv scope:SCOPE_SYS
	v_cmp_eq_u64_e32 vcc_lo, v[26:27], v[24:25]
	s_wait_alu 0xfffe
	s_or_b32 s11, vcc_lo, s11
	s_wait_alu 0xfffe
	s_and_not1_b32 exec_lo, exec_lo, s11
	s_cbranch_execnz .LBB6_1031
; %bb.1032:                             ;   in Loop: Header=BB6_972 Depth=1
	s_or_b32 exec_lo, exec_lo, s11
.LBB6_1033:                             ;   in Loop: Header=BB6_972 Depth=1
	s_wait_alu 0xfffe
	s_or_b32 exec_lo, exec_lo, s10
.LBB6_1034:                             ;   in Loop: Header=BB6_972 Depth=1
	s_wait_alu 0xfffe
	s_or_b32 exec_lo, exec_lo, s1
	s_clause 0x1
	global_load_b64 v[28:29], v3, s[2:3] offset:40
	global_load_b128 v[22:25], v3, s[2:3]
	v_readfirstlane_b32 s11, v27
	v_readfirstlane_b32 s10, v26
	s_mov_b32 s1, exec_lo
	s_wait_loadcnt 0x1
	s_wait_alu 0xf1ff
	v_and_b32_e32 v29, s11, v29
	v_and_b32_e32 v28, s10, v28
	s_delay_alu instid0(VALU_DEP_2) | instskip(NEXT) | instid1(VALU_DEP_2)
	v_mul_lo_u32 v2, 24, v29
	v_mul_lo_u32 v26, 0, v28
	v_mul_hi_u32 v27, 24, v28
	v_mul_lo_u32 v32, 24, v28
	s_delay_alu instid0(VALU_DEP_3) | instskip(SKIP_1) | instid1(VALU_DEP_2)
	v_add_nc_u32_e32 v2, v2, v26
	s_wait_loadcnt 0x0
	v_add_co_u32 v26, vcc_lo, v22, v32
	s_delay_alu instid0(VALU_DEP_2) | instskip(SKIP_1) | instid1(VALU_DEP_1)
	v_add_nc_u32_e32 v2, v2, v27
	s_wait_alu 0xfffd
	v_add_co_ci_u32_e64 v27, null, v23, v2, vcc_lo
	s_and_saveexec_b32 s12, s0
	s_cbranch_execz .LBB6_1036
; %bb.1035:                             ;   in Loop: Header=BB6_972 Depth=1
	s_wait_alu 0xfffe
	v_mov_b32_e32 v2, s1
	global_store_b128 v[26:27], v[2:5], off offset:8
.LBB6_1036:                             ;   in Loop: Header=BB6_972 Depth=1
	s_wait_alu 0xfffe
	s_or_b32 exec_lo, exec_lo, s12
	v_cmp_gt_u64_e64 s1, s[6:7], 56
	v_lshlrev_b64_e32 v[28:29], 12, v[28:29]
	v_and_b32_e32 v2, 0xffffff1f, v6
	s_and_b32 s1, s1, exec_lo
	s_delay_alu instid0(VALU_DEP_2)
	v_add_co_u32 v24, vcc_lo, v24, v28
	s_cselect_b32 s1, 0, 2
	s_wait_alu 0xfffd
	v_add_co_ci_u32_e64 v25, null, v25, v29, vcc_lo
	s_wait_alu 0xfffe
	v_or_b32_e32 v2, s1, v2
	s_lshl_b32 s12, s8, 2
	s_wait_alu 0xfffe
	s_add_co_i32 s1, s12, 28
	v_readfirstlane_b32 s12, v24
	v_readfirstlane_b32 s13, v25
	s_wait_alu 0xfffe
	v_and_or_b32 v6, 0x1e0, s1, v2
	s_clause 0x3
	global_store_b128 v30, v[6:9], s[12:13]
	global_store_b128 v30, v[10:13], s[12:13] offset:16
	global_store_b128 v30, v[14:17], s[12:13] offset:32
	;; [unrolled: 1-line block ×3, first 2 shown]
	s_and_saveexec_b32 s1, s0
	s_cbranch_execz .LBB6_1044
; %bb.1037:                             ;   in Loop: Header=BB6_972 Depth=1
	s_clause 0x1
	global_load_b64 v[14:15], v3, s[2:3] offset:32 scope:SCOPE_SYS
	global_load_b64 v[6:7], v3, s[2:3] offset:40
	v_mov_b32_e32 v12, s10
	s_mov_b32 s12, exec_lo
	s_wait_loadcnt 0x0
	v_dual_mov_b32 v13, s11 :: v_dual_and_b32 v2, s11, v7
	v_and_b32_e32 v6, s10, v6
	s_delay_alu instid0(VALU_DEP_2) | instskip(NEXT) | instid1(VALU_DEP_2)
	v_mul_lo_u32 v2, 24, v2
	v_mul_lo_u32 v7, 0, v6
	v_mul_hi_u32 v8, 24, v6
	v_mul_lo_u32 v6, 24, v6
	s_delay_alu instid0(VALU_DEP_3) | instskip(NEXT) | instid1(VALU_DEP_2)
	v_add_nc_u32_e32 v2, v2, v7
	v_add_co_u32 v10, vcc_lo, v22, v6
	s_delay_alu instid0(VALU_DEP_2) | instskip(SKIP_1) | instid1(VALU_DEP_1)
	v_add_nc_u32_e32 v2, v2, v8
	s_wait_alu 0xfffd
	v_add_co_ci_u32_e64 v11, null, v23, v2, vcc_lo
	global_store_b64 v[10:11], v[14:15], off
	global_wb scope:SCOPE_SYS
	s_wait_storecnt 0x0
	global_atomic_cmpswap_b64 v[8:9], v3, v[12:15], s[2:3] offset:32 th:TH_ATOMIC_RETURN scope:SCOPE_SYS
	s_wait_loadcnt 0x0
	v_cmpx_ne_u64_e64 v[8:9], v[14:15]
	s_cbranch_execz .LBB6_1040
; %bb.1038:                             ;   in Loop: Header=BB6_972 Depth=1
	s_mov_b32 s13, 0
.LBB6_1039:                             ;   Parent Loop BB6_972 Depth=1
                                        ; =>  This Inner Loop Header: Depth=2
	v_dual_mov_b32 v6, s10 :: v_dual_mov_b32 v7, s11
	s_sleep 1
	global_store_b64 v[10:11], v[8:9], off
	global_wb scope:SCOPE_SYS
	s_wait_storecnt 0x0
	global_atomic_cmpswap_b64 v[6:7], v3, v[6:9], s[2:3] offset:32 th:TH_ATOMIC_RETURN scope:SCOPE_SYS
	s_wait_loadcnt 0x0
	v_cmp_eq_u64_e32 vcc_lo, v[6:7], v[8:9]
	v_dual_mov_b32 v9, v7 :: v_dual_mov_b32 v8, v6
	s_wait_alu 0xfffe
	s_or_b32 s13, vcc_lo, s13
	s_wait_alu 0xfffe
	s_and_not1_b32 exec_lo, exec_lo, s13
	s_cbranch_execnz .LBB6_1039
.LBB6_1040:                             ;   in Loop: Header=BB6_972 Depth=1
	s_wait_alu 0xfffe
	s_or_b32 exec_lo, exec_lo, s12
	global_load_b64 v[6:7], v3, s[2:3] offset:16
	s_mov_b32 s13, exec_lo
	s_mov_b32 s12, exec_lo
	s_wait_alu 0xfffe
	v_mbcnt_lo_u32_b32 v2, s13, 0
	s_delay_alu instid0(VALU_DEP_1)
	v_cmpx_eq_u32_e32 0, v2
	s_cbranch_execz .LBB6_1042
; %bb.1041:                             ;   in Loop: Header=BB6_972 Depth=1
	s_bcnt1_i32_b32 s13, s13
	s_wait_alu 0xfffe
	v_mov_b32_e32 v2, s13
	global_wb scope:SCOPE_SYS
	s_wait_loadcnt 0x0
	s_wait_storecnt 0x0
	global_atomic_add_u64 v[6:7], v[2:3], off offset:8 scope:SCOPE_SYS
.LBB6_1042:                             ;   in Loop: Header=BB6_972 Depth=1
	s_or_b32 exec_lo, exec_lo, s12
	s_wait_loadcnt 0x0
	global_load_b64 v[8:9], v[6:7], off offset:16
	s_wait_loadcnt 0x0
	v_cmp_eq_u64_e32 vcc_lo, 0, v[8:9]
	s_cbranch_vccnz .LBB6_1044
; %bb.1043:                             ;   in Loop: Header=BB6_972 Depth=1
	global_load_b32 v2, v[6:7], off offset:24
	s_wait_loadcnt 0x0
	v_readfirstlane_b32 s12, v2
	global_wb scope:SCOPE_SYS
	s_wait_storecnt 0x0
	global_store_b64 v[8:9], v[2:3], off scope:SCOPE_SYS
	s_and_b32 m0, s12, 0xffffff
	s_sendmsg sendmsg(MSG_INTERRUPT)
.LBB6_1044:                             ;   in Loop: Header=BB6_972 Depth=1
	s_wait_alu 0xfffe
	s_or_b32 exec_lo, exec_lo, s1
	v_add_co_u32 v6, vcc_lo, v24, v30
	s_wait_alu 0xfffd
	v_add_co_ci_u32_e64 v7, null, 0, v25, vcc_lo
	s_branch .LBB6_1048
.LBB6_1045:                             ;   in Loop: Header=BB6_1048 Depth=2
	s_wait_alu 0xfffe
	s_or_b32 exec_lo, exec_lo, s1
	s_delay_alu instid0(VALU_DEP_1)
	v_readfirstlane_b32 s1, v2
	s_cmp_eq_u32 s1, 0
	s_cbranch_scc1 .LBB6_1047
; %bb.1046:                             ;   in Loop: Header=BB6_1048 Depth=2
	s_sleep 1
	s_cbranch_execnz .LBB6_1048
	s_branch .LBB6_1050
.LBB6_1047:                             ;   in Loop: Header=BB6_972 Depth=1
	s_branch .LBB6_1050
.LBB6_1048:                             ;   Parent Loop BB6_972 Depth=1
                                        ; =>  This Inner Loop Header: Depth=2
	v_mov_b32_e32 v2, 1
	s_and_saveexec_b32 s1, s0
	s_cbranch_execz .LBB6_1045
; %bb.1049:                             ;   in Loop: Header=BB6_1048 Depth=2
	global_load_b32 v2, v[26:27], off offset:20 scope:SCOPE_SYS
	s_wait_loadcnt 0x0
	global_inv scope:SCOPE_SYS
	v_and_b32_e32 v2, 1, v2
	s_branch .LBB6_1045
.LBB6_1050:                             ;   in Loop: Header=BB6_972 Depth=1
	global_load_b128 v[6:9], v[6:7], off
	s_and_saveexec_b32 s12, s0
	s_cbranch_execz .LBB6_971
; %bb.1051:                             ;   in Loop: Header=BB6_972 Depth=1
	s_wait_loadcnt 0x0
	s_clause 0x2
	global_load_b64 v[8:9], v3, s[2:3] offset:40
	global_load_b64 v[16:17], v3, s[2:3] offset:24 scope:SCOPE_SYS
	global_load_b64 v[10:11], v3, s[2:3]
	s_wait_loadcnt 0x2
	v_readfirstlane_b32 s14, v8
	v_readfirstlane_b32 s15, v9
	s_add_nc_u64 s[0:1], s[14:15], 1
	s_wait_alu 0xfffe
	s_add_nc_u64 s[10:11], s[0:1], s[10:11]
	s_wait_alu 0xfffe
	s_cmp_eq_u64 s[10:11], 0
	s_cselect_b32 s1, s1, s11
	s_cselect_b32 s0, s0, s10
	s_wait_alu 0xfffe
	v_dual_mov_b32 v15, s1 :: v_dual_mov_b32 v14, s0
	s_and_b64 s[10:11], s[0:1], s[14:15]
	s_wait_alu 0xfffe
	s_mul_u64 s[10:11], s[10:11], 24
	s_wait_loadcnt 0x0
	s_wait_alu 0xfffe
	v_add_co_u32 v12, vcc_lo, v10, s10
	s_wait_alu 0xfffd
	v_add_co_ci_u32_e64 v13, null, s11, v11, vcc_lo
	global_store_b64 v[12:13], v[16:17], off
	global_wb scope:SCOPE_SYS
	s_wait_storecnt 0x0
	global_atomic_cmpswap_b64 v[10:11], v3, v[14:17], s[2:3] offset:24 th:TH_ATOMIC_RETURN scope:SCOPE_SYS
	s_wait_loadcnt 0x0
	v_cmp_ne_u64_e32 vcc_lo, v[10:11], v[16:17]
	s_and_b32 exec_lo, exec_lo, vcc_lo
	s_cbranch_execz .LBB6_971
; %bb.1052:                             ;   in Loop: Header=BB6_972 Depth=1
	s_mov_b32 s10, 0
.LBB6_1053:                             ;   Parent Loop BB6_972 Depth=1
                                        ; =>  This Inner Loop Header: Depth=2
	v_dual_mov_b32 v8, s0 :: v_dual_mov_b32 v9, s1
	s_sleep 1
	global_store_b64 v[12:13], v[10:11], off
	global_wb scope:SCOPE_SYS
	s_wait_storecnt 0x0
	global_atomic_cmpswap_b64 v[8:9], v3, v[8:11], s[2:3] offset:24 th:TH_ATOMIC_RETURN scope:SCOPE_SYS
	s_wait_loadcnt 0x0
	v_cmp_eq_u64_e32 vcc_lo, v[8:9], v[10:11]
	v_dual_mov_b32 v11, v9 :: v_dual_mov_b32 v10, v8
	s_wait_alu 0xfffe
	s_or_b32 s10, vcc_lo, s10
	s_wait_alu 0xfffe
	s_and_not1_b32 exec_lo, exec_lo, s10
	s_cbranch_execnz .LBB6_1053
	s_branch .LBB6_971
.LBB6_1054:
	s_mov_b32 s0, 0
	s_branch .LBB6_1056
.LBB6_1055:
	s_mov_b32 s0, -1
.LBB6_1056:
	s_wait_alu 0xfffe
	s_and_b32 vcc_lo, exec_lo, s0
	s_wait_alu 0xfffe
	s_cbranch_vccz .LBB6_1084
; %bb.1057:
	v_readfirstlane_b32 s0, v31
	s_wait_loadcnt 0x0
	v_mov_b32_e32 v8, 0
	v_mov_b32_e32 v9, 0
	s_wait_alu 0xf1ff
	v_cmp_eq_u32_e64 s0, s0, v31
	s_and_saveexec_b32 s1, s0
	s_cbranch_execz .LBB6_1063
; %bb.1058:
	v_mov_b32_e32 v2, 0
	s_mov_b32 s4, exec_lo
	global_load_b64 v[5:6], v2, s[2:3] offset:24 scope:SCOPE_SYS
	s_wait_loadcnt 0x0
	global_inv scope:SCOPE_SYS
	s_clause 0x1
	global_load_b64 v[3:4], v2, s[2:3] offset:40
	global_load_b64 v[7:8], v2, s[2:3]
	s_wait_loadcnt 0x1
	v_and_b32_e32 v4, v4, v6
	v_and_b32_e32 v3, v3, v5
	s_delay_alu instid0(VALU_DEP_2) | instskip(NEXT) | instid1(VALU_DEP_2)
	v_mul_lo_u32 v4, 24, v4
	v_mul_lo_u32 v9, 0, v3
	v_mul_hi_u32 v10, 24, v3
	v_mul_lo_u32 v3, 24, v3
	s_delay_alu instid0(VALU_DEP_3) | instskip(SKIP_1) | instid1(VALU_DEP_2)
	v_add_nc_u32_e32 v4, v4, v9
	s_wait_loadcnt 0x0
	v_add_co_u32 v3, vcc_lo, v7, v3
	s_delay_alu instid0(VALU_DEP_2) | instskip(SKIP_1) | instid1(VALU_DEP_1)
	v_add_nc_u32_e32 v4, v4, v10
	s_wait_alu 0xfffd
	v_add_co_ci_u32_e64 v4, null, v8, v4, vcc_lo
	global_load_b64 v[3:4], v[3:4], off scope:SCOPE_SYS
	s_wait_loadcnt 0x0
	global_atomic_cmpswap_b64 v[8:9], v2, v[3:6], s[2:3] offset:24 th:TH_ATOMIC_RETURN scope:SCOPE_SYS
	s_wait_loadcnt 0x0
	global_inv scope:SCOPE_SYS
	v_cmpx_ne_u64_e64 v[8:9], v[5:6]
	s_cbranch_execz .LBB6_1062
; %bb.1059:
	s_mov_b32 s5, 0
.LBB6_1060:                             ; =>This Inner Loop Header: Depth=1
	s_sleep 1
	s_clause 0x1
	global_load_b64 v[3:4], v2, s[2:3] offset:40
	global_load_b64 v[10:11], v2, s[2:3]
	v_dual_mov_b32 v5, v8 :: v_dual_mov_b32 v6, v9
	s_wait_loadcnt 0x1
	s_delay_alu instid0(VALU_DEP_1) | instskip(NEXT) | instid1(VALU_DEP_2)
	v_and_b32_e32 v3, v3, v5
	v_and_b32_e32 v4, v4, v6
	s_wait_loadcnt 0x0
	s_delay_alu instid0(VALU_DEP_2) | instskip(NEXT) | instid1(VALU_DEP_1)
	v_mad_co_u64_u32 v[7:8], null, v3, 24, v[10:11]
	v_mov_b32_e32 v3, v8
	s_delay_alu instid0(VALU_DEP_1) | instskip(NEXT) | instid1(VALU_DEP_1)
	v_mad_co_u64_u32 v[3:4], null, v4, 24, v[3:4]
	v_mov_b32_e32 v8, v3
	global_load_b64 v[3:4], v[7:8], off scope:SCOPE_SYS
	s_wait_loadcnt 0x0
	global_atomic_cmpswap_b64 v[8:9], v2, v[3:6], s[2:3] offset:24 th:TH_ATOMIC_RETURN scope:SCOPE_SYS
	s_wait_loadcnt 0x0
	global_inv scope:SCOPE_SYS
	v_cmp_eq_u64_e32 vcc_lo, v[8:9], v[5:6]
	s_wait_alu 0xfffe
	s_or_b32 s5, vcc_lo, s5
	s_wait_alu 0xfffe
	s_and_not1_b32 exec_lo, exec_lo, s5
	s_cbranch_execnz .LBB6_1060
; %bb.1061:
	s_or_b32 exec_lo, exec_lo, s5
.LBB6_1062:
	s_wait_alu 0xfffe
	s_or_b32 exec_lo, exec_lo, s4
.LBB6_1063:
	s_wait_alu 0xfffe
	s_or_b32 exec_lo, exec_lo, s1
	v_readfirstlane_b32 s5, v9
	v_mov_b32_e32 v2, 0
	v_readfirstlane_b32 s4, v8
	s_mov_b32 s1, exec_lo
	s_clause 0x1
	global_load_b64 v[10:11], v2, s[2:3] offset:40
	global_load_b128 v[4:7], v2, s[2:3]
	s_wait_loadcnt 0x1
	s_wait_alu 0xf1ff
	v_and_b32_e32 v11, s5, v11
	v_and_b32_e32 v10, s4, v10
	s_delay_alu instid0(VALU_DEP_2) | instskip(NEXT) | instid1(VALU_DEP_2)
	v_mul_lo_u32 v3, 24, v11
	v_mul_lo_u32 v8, 0, v10
	v_mul_hi_u32 v9, 24, v10
	v_mul_lo_u32 v12, 24, v10
	s_delay_alu instid0(VALU_DEP_3) | instskip(SKIP_1) | instid1(VALU_DEP_2)
	v_add_nc_u32_e32 v3, v3, v8
	s_wait_loadcnt 0x0
	v_add_co_u32 v8, vcc_lo, v4, v12
	s_delay_alu instid0(VALU_DEP_2) | instskip(SKIP_1) | instid1(VALU_DEP_1)
	v_add_nc_u32_e32 v3, v3, v9
	s_wait_alu 0xfffd
	v_add_co_ci_u32_e64 v9, null, v5, v3, vcc_lo
	s_and_saveexec_b32 s6, s0
	s_cbranch_execz .LBB6_1065
; %bb.1064:
	s_wait_alu 0xfffe
	v_dual_mov_b32 v12, s1 :: v_dual_mov_b32 v13, v2
	v_dual_mov_b32 v14, 2 :: v_dual_mov_b32 v15, 1
	global_store_b128 v[8:9], v[12:15], off offset:8
.LBB6_1065:
	s_wait_alu 0xfffe
	s_or_b32 exec_lo, exec_lo, s6
	v_lshlrev_b64_e32 v[10:11], 12, v[10:11]
	s_mov_b32 s8, 0
	v_and_or_b32 v0, 0xffffff1d, v0, 34
	s_wait_alu 0xfffe
	s_mov_b32 s11, s8
	s_mov_b32 s9, s8
	s_mov_b32 s10, s8
	v_add_co_u32 v6, vcc_lo, v6, v10
	s_wait_alu 0xfffd
	v_add_co_ci_u32_e64 v7, null, v7, v11, vcc_lo
	v_mov_b32_e32 v3, v2
	s_delay_alu instid0(VALU_DEP_3)
	v_readfirstlane_b32 s6, v6
	s_wait_alu 0xfffe
	v_dual_mov_b32 v13, s11 :: v_dual_mov_b32 v10, s8
	v_readfirstlane_b32 s7, v7
	v_dual_mov_b32 v12, s10 :: v_dual_mov_b32 v11, s9
	s_clause 0x3
	global_store_b128 v30, v[0:3], s[6:7]
	global_store_b128 v30, v[10:13], s[6:7] offset:16
	global_store_b128 v30, v[10:13], s[6:7] offset:32
	;; [unrolled: 1-line block ×3, first 2 shown]
	s_and_saveexec_b32 s1, s0
	s_cbranch_execz .LBB6_1073
; %bb.1066:
	v_mov_b32_e32 v6, 0
	s_mov_b32 s6, exec_lo
	s_clause 0x1
	global_load_b64 v[12:13], v6, s[2:3] offset:32 scope:SCOPE_SYS
	global_load_b64 v[0:1], v6, s[2:3] offset:40
	v_dual_mov_b32 v11, s5 :: v_dual_mov_b32 v10, s4
	s_wait_loadcnt 0x0
	v_and_b32_e32 v1, s5, v1
	v_and_b32_e32 v0, s4, v0
	s_delay_alu instid0(VALU_DEP_2) | instskip(NEXT) | instid1(VALU_DEP_2)
	v_mul_lo_u32 v1, 24, v1
	v_mul_lo_u32 v2, 0, v0
	v_mul_hi_u32 v3, 24, v0
	v_mul_lo_u32 v0, 24, v0
	s_delay_alu instid0(VALU_DEP_3) | instskip(NEXT) | instid1(VALU_DEP_2)
	v_add_nc_u32_e32 v1, v1, v2
	v_add_co_u32 v4, vcc_lo, v4, v0
	s_delay_alu instid0(VALU_DEP_2) | instskip(SKIP_1) | instid1(VALU_DEP_1)
	v_add_nc_u32_e32 v1, v1, v3
	s_wait_alu 0xfffd
	v_add_co_ci_u32_e64 v5, null, v5, v1, vcc_lo
	global_store_b64 v[4:5], v[12:13], off
	global_wb scope:SCOPE_SYS
	s_wait_storecnt 0x0
	global_atomic_cmpswap_b64 v[2:3], v6, v[10:13], s[2:3] offset:32 th:TH_ATOMIC_RETURN scope:SCOPE_SYS
	s_wait_loadcnt 0x0
	v_cmpx_ne_u64_e64 v[2:3], v[12:13]
	s_cbranch_execz .LBB6_1069
; %bb.1067:
	s_mov_b32 s7, 0
.LBB6_1068:                             ; =>This Inner Loop Header: Depth=1
	v_dual_mov_b32 v0, s4 :: v_dual_mov_b32 v1, s5
	s_sleep 1
	global_store_b64 v[4:5], v[2:3], off
	global_wb scope:SCOPE_SYS
	s_wait_storecnt 0x0
	global_atomic_cmpswap_b64 v[0:1], v6, v[0:3], s[2:3] offset:32 th:TH_ATOMIC_RETURN scope:SCOPE_SYS
	s_wait_loadcnt 0x0
	v_cmp_eq_u64_e32 vcc_lo, v[0:1], v[2:3]
	v_dual_mov_b32 v3, v1 :: v_dual_mov_b32 v2, v0
	s_wait_alu 0xfffe
	s_or_b32 s7, vcc_lo, s7
	s_wait_alu 0xfffe
	s_and_not1_b32 exec_lo, exec_lo, s7
	s_cbranch_execnz .LBB6_1068
.LBB6_1069:
	s_wait_alu 0xfffe
	s_or_b32 exec_lo, exec_lo, s6
	v_mov_b32_e32 v3, 0
	s_mov_b32 s7, exec_lo
	s_mov_b32 s6, exec_lo
	s_wait_alu 0xfffe
	v_mbcnt_lo_u32_b32 v2, s7, 0
	global_load_b64 v[0:1], v3, s[2:3] offset:16
	v_cmpx_eq_u32_e32 0, v2
	s_cbranch_execz .LBB6_1071
; %bb.1070:
	s_bcnt1_i32_b32 s7, s7
	s_wait_alu 0xfffe
	v_mov_b32_e32 v2, s7
	global_wb scope:SCOPE_SYS
	s_wait_loadcnt 0x0
	s_wait_storecnt 0x0
	global_atomic_add_u64 v[0:1], v[2:3], off offset:8 scope:SCOPE_SYS
.LBB6_1071:
	s_or_b32 exec_lo, exec_lo, s6
	s_wait_loadcnt 0x0
	global_load_b64 v[2:3], v[0:1], off offset:16
	s_wait_loadcnt 0x0
	v_cmp_eq_u64_e32 vcc_lo, 0, v[2:3]
	s_cbranch_vccnz .LBB6_1073
; %bb.1072:
	global_load_b32 v0, v[0:1], off offset:24
	v_mov_b32_e32 v1, 0
	s_wait_loadcnt 0x0
	v_readfirstlane_b32 s6, v0
	global_wb scope:SCOPE_SYS
	s_wait_storecnt 0x0
	global_store_b64 v[2:3], v[0:1], off scope:SCOPE_SYS
	s_and_b32 m0, s6, 0xffffff
	s_sendmsg sendmsg(MSG_INTERRUPT)
.LBB6_1073:
	s_wait_alu 0xfffe
	s_or_b32 exec_lo, exec_lo, s1
	s_branch .LBB6_1077
.LBB6_1074:                             ;   in Loop: Header=BB6_1077 Depth=1
	s_wait_alu 0xfffe
	s_or_b32 exec_lo, exec_lo, s1
	s_delay_alu instid0(VALU_DEP_1)
	v_readfirstlane_b32 s1, v0
	s_cmp_eq_u32 s1, 0
	s_cbranch_scc1 .LBB6_1076
; %bb.1075:                             ;   in Loop: Header=BB6_1077 Depth=1
	s_sleep 1
	s_cbranch_execnz .LBB6_1077
	s_branch .LBB6_1079
.LBB6_1076:
	s_branch .LBB6_1079
.LBB6_1077:                             ; =>This Inner Loop Header: Depth=1
	v_mov_b32_e32 v0, 1
	s_and_saveexec_b32 s1, s0
	s_cbranch_execz .LBB6_1074
; %bb.1078:                             ;   in Loop: Header=BB6_1077 Depth=1
	global_load_b32 v0, v[8:9], off offset:20 scope:SCOPE_SYS
	s_wait_loadcnt 0x0
	global_inv scope:SCOPE_SYS
	v_and_b32_e32 v0, 1, v0
	s_branch .LBB6_1074
.LBB6_1079:
	s_and_saveexec_b32 s6, s0
	s_cbranch_execz .LBB6_1083
; %bb.1080:
	v_mov_b32_e32 v6, 0
	s_clause 0x2
	global_load_b64 v[0:1], v6, s[2:3] offset:40
	global_load_b64 v[9:10], v6, s[2:3] offset:24 scope:SCOPE_SYS
	global_load_b64 v[2:3], v6, s[2:3]
	s_wait_loadcnt 0x2
	v_readfirstlane_b32 s8, v0
	v_readfirstlane_b32 s9, v1
	s_add_nc_u64 s[0:1], s[8:9], 1
	s_wait_alu 0xfffe
	s_add_nc_u64 s[4:5], s[0:1], s[4:5]
	s_wait_alu 0xfffe
	s_cmp_eq_u64 s[4:5], 0
	s_cselect_b32 s1, s1, s5
	s_cselect_b32 s0, s0, s4
	s_wait_alu 0xfffe
	v_mov_b32_e32 v8, s1
	s_and_b64 s[4:5], s[0:1], s[8:9]
	v_mov_b32_e32 v7, s0
	s_wait_alu 0xfffe
	s_mul_u64 s[4:5], s[4:5], 24
	s_wait_loadcnt 0x0
	s_wait_alu 0xfffe
	v_add_co_u32 v4, vcc_lo, v2, s4
	s_wait_alu 0xfffd
	v_add_co_ci_u32_e64 v5, null, s5, v3, vcc_lo
	global_store_b64 v[4:5], v[9:10], off
	global_wb scope:SCOPE_SYS
	s_wait_storecnt 0x0
	global_atomic_cmpswap_b64 v[2:3], v6, v[7:10], s[2:3] offset:24 th:TH_ATOMIC_RETURN scope:SCOPE_SYS
	s_wait_loadcnt 0x0
	v_cmp_ne_u64_e32 vcc_lo, v[2:3], v[9:10]
	s_and_b32 exec_lo, exec_lo, vcc_lo
	s_cbranch_execz .LBB6_1083
; %bb.1081:
	s_mov_b32 s4, 0
.LBB6_1082:                             ; =>This Inner Loop Header: Depth=1
	v_dual_mov_b32 v0, s0 :: v_dual_mov_b32 v1, s1
	s_sleep 1
	global_store_b64 v[4:5], v[2:3], off
	global_wb scope:SCOPE_SYS
	s_wait_storecnt 0x0
	global_atomic_cmpswap_b64 v[0:1], v6, v[0:3], s[2:3] offset:24 th:TH_ATOMIC_RETURN scope:SCOPE_SYS
	s_wait_loadcnt 0x0
	v_cmp_eq_u64_e32 vcc_lo, v[0:1], v[2:3]
	v_dual_mov_b32 v3, v1 :: v_dual_mov_b32 v2, v0
	s_wait_alu 0xfffe
	s_or_b32 s4, vcc_lo, s4
	s_wait_alu 0xfffe
	s_and_not1_b32 exec_lo, exec_lo, s4
	s_cbranch_execnz .LBB6_1082
.LBB6_1083:
	s_wait_alu 0xfffe
	s_or_b32 exec_lo, exec_lo, s6
.LBB6_1084:
	s_getpc_b64 s[0:1]
	s_wait_alu 0xfffe
	s_sext_i32_i16 s1, s1
	s_add_co_u32 s0, s0, .str.29@rel32@lo+12
	s_wait_alu 0xfffe
	s_add_co_ci_u32 s1, s1, .str.29@rel32@hi+24
	s_getpc_b64 s[2:3]
	s_wait_alu 0xfffe
	s_sext_i32_i16 s3, s3
	s_add_co_u32 s2, s2, .str.19@rel32@lo+12
	s_wait_alu 0xfffe
	s_add_co_ci_u32 s3, s3, .str.19@rel32@hi+24
	s_getpc_b64 s[4:5]
	s_wait_alu 0xfffe
	s_sext_i32_i16 s5, s5
	s_add_co_u32 s4, s4, __PRETTY_FUNCTION__._ZN7VecsMemIjLi8192EE5fetchEi@rel32@lo+12
	s_wait_alu 0xfffe
	s_add_co_ci_u32 s5, s5, __PRETTY_FUNCTION__._ZN7VecsMemIjLi8192EE5fetchEi@rel32@hi+24
	s_wait_loadcnt 0x0
	v_dual_mov_b32 v0, s0 :: v_dual_mov_b32 v1, s1
	v_dual_mov_b32 v2, s2 :: v_dual_mov_b32 v3, s3
	;; [unrolled: 1-line block ×3, first 2 shown]
	s_wait_alu 0xfffe
	v_mov_b32_e32 v6, s5
	s_getpc_b64 s[6:7]
	s_wait_alu 0xfffe
	s_sext_i32_i16 s7, s7
	s_add_co_u32 s6, s6, __assert_fail@rel32@lo+12
	s_wait_alu 0xfffe
	s_add_co_ci_u32 s7, s7, __assert_fail@rel32@hi+24
	s_mov_b64 s[8:9], s[52:53]
	s_wait_alu 0xfffe
	s_swappc_b64 s[30:31], s[6:7]
	s_or_b32 s0, s67, exec_lo
.LBB6_1085:
	s_or_b32 exec_lo, exec_lo, s19
	s_delay_alu instid0(SALU_CYCLE_1)
	s_and_not1_b32 s1, s67, exec_lo
	s_wait_alu 0xfffe
	s_and_b32 s0, s0, exec_lo
	s_wait_alu 0xfffe
	s_or_b32 s69, s1, s0
	s_or_not1_b32 s0, s17, exec_lo
.LBB6_1086:
	s_wait_alu 0xfffe
	s_or_b32 exec_lo, exec_lo, s18
	s_mov_b32 s1, 0
                                        ; implicit-def: $vgpr41
	s_and_saveexec_b32 s70, s0
	s_cbranch_execz .LBB6_1306
; %bb.1087:
	s_mov_b32 s2, 0
	s_mov_b32 s0, -1
	s_mov_b32 s1, exec_lo
	scratch_store_b64 off, v[80:81], s33 offset:64
	v_cmpx_lt_i32_e32 0, v70
	s_cbranch_execz .LBB6_1095
; %bb.1088:
	v_not_b32_e32 v4, v82
	v_dual_mov_b32 v0, 0 :: v_dual_mov_b32 v5, 0
	s_mov_b32 s3, 0
	s_branch .LBB6_1090
.LBB6_1089:                             ;   in Loop: Header=BB6_1090 Depth=1
	s_or_b32 exec_lo, exec_lo, s0
	v_ashrrev_i32_e32 v1, 31, v0
	s_add_co_i32 s3, s3, 1
	v_add_co_u32 v64, s0, v64, 4
	s_wait_alu 0xf1ff
	v_add_co_ci_u32_e64 v65, null, 0, v65, s0
	v_lshlrev_b64_e32 v[0:1], 2, v[0:1]
	s_delay_alu instid0(VALU_DEP_1) | instskip(SKIP_1) | instid1(VALU_DEP_2)
	v_add_co_u32 v0, vcc_lo, v2, v0
	s_wait_alu 0xfffd
	v_add_co_ci_u32_e64 v1, null, v3, v1, vcc_lo
	flat_store_b32 v[0:1], v7
	flat_load_b32 v0, v[54:55] offset:4
	s_wait_loadcnt_dscnt 0x0
	s_wait_alu 0xfffe
	v_cmp_ge_i32_e32 vcc_lo, s3, v0
	v_mov_b32_e32 v0, v6
	s_or_b32 s2, vcc_lo, s2
	s_wait_alu 0xfffe
	s_and_not1_b32 exec_lo, exec_lo, s2
	s_cbranch_execz .LBB6_1094
.LBB6_1090:                             ; =>This Inner Loop Header: Depth=1
	flat_load_b32 v7, v[64:65]
	s_mov_b32 s0, exec_lo
                                        ; implicit-def: $vgpr6
	s_wait_loadcnt_dscnt 0x0
	v_and_b32_e32 v1, v7, v82
	s_delay_alu instid0(VALU_DEP_1)
	v_cmpx_ne_u32_e32 0, v1
	s_wait_alu 0xfffe
	s_xor_b32 s0, exec_lo, s0
	s_cbranch_execz .LBB6_1092
; %bb.1091:                             ;   in Loop: Header=BB6_1090 Depth=1
	v_add_nc_u32_e32 v6, 1, v0
	v_and_b32_e32 v7, v7, v4
	scratch_store_b32 off, v6, s33 offset:44
.LBB6_1092:                             ;   in Loop: Header=BB6_1090 Depth=1
	s_wait_alu 0xfffe
	s_or_saveexec_b32 s0, s0
	v_mov_b32_e32 v2, v68
	v_dual_mov_b32 v8, v5 :: v_dual_mov_b32 v3, v69
	s_wait_alu 0xfffe
	s_xor_b32 exec_lo, exec_lo, s0
	s_cbranch_execz .LBB6_1089
; %bb.1093:                             ;   in Loop: Header=BB6_1090 Depth=1
	v_add_nc_u32_e32 v8, 1, v5
	v_dual_mov_b32 v2, v80 :: v_dual_mov_b32 v3, v81
	v_mov_b32_e32 v6, v0
	s_delay_alu instid0(VALU_DEP_3)
	v_dual_mov_b32 v0, v5 :: v_dual_mov_b32 v5, v8
	scratch_store_b32 off, v8, s33 offset:60
	s_branch .LBB6_1089
.LBB6_1094:
	s_or_b32 exec_lo, exec_lo, s2
	v_cmp_eq_u32_e32 vcc_lo, 0, v8
	s_or_not1_b32 s0, vcc_lo, exec_lo
.LBB6_1095:
	s_wait_alu 0xfffe
	s_or_b32 exec_lo, exec_lo, s1
	flat_load_b32 v0, v[66:67] offset:4
	v_dual_mov_b32 v1, 0 :: v_dual_mov_b32 v2, v47
	v_dual_mov_b32 v3, v42 :: v_dual_mov_b32 v4, v43
	s_xor_b32 s71, s0, -1
	s_getpc_b64 s[0:1]
	s_wait_alu 0xfffe
	s_sext_i32_i16 s1, s1
	s_add_co_u32 s0, s0, _ZN3sop23sopFactorTrivialCubeRecEjiiPN8subgUtil4SubgILi256EEE@rel32@lo+12
	s_wait_alu 0xfffe
	s_add_co_ci_u32 s1, s1, _ZN3sop23sopFactorTrivialCubeRecEjiiPN8subgUtil4SubgILi256EEE@rel32@hi+24
	s_mov_b64 s[8:9], s[52:53]
	s_mov_b64 s[80:81], src_private_base
	s_wait_alu 0xfffe
	s_swappc_b64 s[30:31], s[0:1]
	s_getpc_b64 s[0:1]
	s_wait_alu 0xfffe
	s_sext_i32_i16 s1, s1
	s_add_co_u32 s0, s0, _ZN3sop12sopFactorRecEPNS_3SopEiP7VecsMemIjLi8192EEPN8subgUtil4SubgILi256EEE@rel32@lo+12
	s_wait_alu 0xfffe
	s_add_co_ci_u32 s1, s1, _ZN3sop12sopFactorRecEPNS_3SopEiP7VecsMemIjLi8192EEPN8subgUtil4SubgILi256EEE@rel32@hi+24
	s_add_co_i32 s2, s33, 40
	v_dual_mov_b32 v40, v0 :: v_dual_mov_b32 v1, s81
	s_wait_alu 0xfffe
	v_dual_mov_b32 v0, s2 :: v_dual_mov_b32 v3, v44
	v_dual_mov_b32 v2, v47 :: v_dual_mov_b32 v5, v42
	v_mov_b32_e32 v4, v45
	v_mov_b32_e32 v6, v43
	s_mov_b64 s[8:9], s[52:53]
	s_wait_alu 0xfffe
	s_swappc_b64 s[30:31], s[0:1]
	flat_load_b32 v1, v[42:43]
	s_mov_b32 s34, s69
	s_mov_b32 s0, exec_lo
	s_wait_loadcnt_dscnt 0x0
	v_cmpx_lt_i32_e32 0xff, v1
	s_wait_alu 0xfffe
	s_xor_b32 s17, exec_lo, s0
	s_cbranch_execz .LBB6_1097
; %bb.1096:
	s_getpc_b64 s[0:1]
	s_wait_alu 0xfffe
	s_sext_i32_i16 s1, s1
	s_add_co_u32 s0, s0, .str.43@rel32@lo+12
	s_wait_alu 0xfffe
	s_add_co_ci_u32 s1, s1, .str.43@rel32@hi+24
	s_getpc_b64 s[2:3]
	s_wait_alu 0xfffe
	s_sext_i32_i16 s3, s3
	s_add_co_u32 s2, s2, .str.44@rel32@lo+12
	s_wait_alu 0xfffe
	s_add_co_ci_u32 s3, s3, .str.44@rel32@hi+24
	s_getpc_b64 s[4:5]
	s_wait_alu 0xfffe
	s_sext_i32_i16 s5, s5
	s_add_co_u32 s4, s4, __PRETTY_FUNCTION__._ZN8subgUtil4SubgILi256EE10addNodeAndEii@rel32@lo+12
	s_wait_alu 0xfffe
	s_add_co_ci_u32 s5, s5, __PRETTY_FUNCTION__._ZN8subgUtil4SubgILi256EE10addNodeAndEii@rel32@hi+24
	v_dual_mov_b32 v0, s0 :: v_dual_mov_b32 v1, s1
	v_dual_mov_b32 v2, s2 :: v_dual_mov_b32 v3, s3
	;; [unrolled: 1-line block ×3, first 2 shown]
	s_wait_alu 0xfffe
	v_mov_b32_e32 v6, s5
	s_getpc_b64 s[6:7]
	s_wait_alu 0xfffe
	s_sext_i32_i16 s7, s7
	s_add_co_u32 s6, s6, __assert_fail@rel32@lo+12
	s_wait_alu 0xfffe
	s_add_co_ci_u32 s7, s7, __assert_fail@rel32@hi+24
	s_mov_b64 s[8:9], s[52:53]
	s_wait_alu 0xfffe
	s_swappc_b64 s[30:31], s[6:7]
	s_or_b32 s34, s69, exec_lo
                                        ; implicit-def: $vgpr1
                                        ; implicit-def: $vgpr40
                                        ; implicit-def: $vgpr0
                                        ; implicit-def: $vgpr42_vgpr43
                                        ; implicit-def: $vgpr44
                                        ; implicit-def: $vgpr47
.LBB6_1097:
	s_wait_alu 0xfffe
	s_or_saveexec_b32 s35, s17
	s_mov_b32 s0, 0
                                        ; implicit-def: $vgpr41
	s_wait_alu 0xfffe
	s_xor_b32 exec_lo, exec_lo, s35
	s_cbranch_execz .LBB6_1305
; %bb.1098:
	v_or_b32_e32 v2, v0, v40
	s_mov_b32 s0, -1
	s_mov_b32 s17, 0
	s_mov_b32 s18, s34
                                        ; implicit-def: $vgpr41
	s_mov_b32 s1, exec_lo
	v_cmpx_lt_i32_e32 -1, v2
	s_wait_alu 0xfffe
	s_xor_b32 s36, exec_lo, s1
	s_cbranch_execz .LBB6_1302
; %bb.1099:
	v_ashrrev_i32_e32 v2, 31, v1
	v_max_i32_e32 v4, v40, v0
	v_min_i32_e32 v5, v40, v0
	v_add_nc_u32_e32 v0, 1, v1
	v_lshlrev_b32_e32 v41, 1, v1
	v_lshlrev_b64_e32 v[2:3], 3, v[1:2]
	v_lshlrev_b32_e32 v4, 1, v4
	s_mov_b32 s1, s34
	s_delay_alu instid0(VALU_DEP_2) | instskip(SKIP_1) | instid1(VALU_DEP_3)
	v_add_co_u32 v2, vcc_lo, v42, v2
	s_wait_alu 0xfffd
	v_add_co_ci_u32_e64 v3, null, v43, v3, vcc_lo
	s_clause 0x1
	flat_store_b32 v[42:43], v0
	flat_store_b64 v[2:3], v[4:5] offset:8
	s_and_saveexec_b32 s37, s71
	s_cbranch_execz .LBB6_1299
; %bb.1100:
	s_mov_b64 s[0:1], src_private_base
	s_getpc_b64 s[2:3]
	s_wait_alu 0xfffe
	s_sext_i32_i16 s3, s3
	s_add_co_u32 s2, s2, _ZN3sop12sopFactorRecEPNS_3SopEiP7VecsMemIjLi8192EEPN8subgUtil4SubgILi256EEE@rel32@lo+12
	s_wait_alu 0xfffe
	s_add_co_ci_u32 s3, s3, _ZN3sop12sopFactorRecEPNS_3SopEiP7VecsMemIjLi8192EEPN8subgUtil4SubgILi256EEE@rel32@hi+24
	s_add_co_i32 s0, s33, 56
	s_wait_alu 0xfffe
	v_dual_mov_b32 v1, s1 :: v_dual_mov_b32 v0, s0
	v_dual_mov_b32 v2, v47 :: v_dual_mov_b32 v3, v44
	;; [unrolled: 1-line block ×3, first 2 shown]
	v_mov_b32_e32 v6, v43
	s_mov_b64 s[8:9], s[52:53]
	s_wait_alu 0xfffe
	s_swappc_b64 s[30:31], s[2:3]
	flat_load_b32 v1, v[42:43]
	s_mov_b32 s17, s34
	s_mov_b32 s0, exec_lo
	s_wait_loadcnt_dscnt 0x0
	v_cmpx_lt_i32_e32 0xff, v1
	s_wait_alu 0xfffe
	s_xor_b32 s18, exec_lo, s0
	s_cbranch_execz .LBB6_1102
; %bb.1101:
	s_getpc_b64 s[0:1]
	s_wait_alu 0xfffe
	s_sext_i32_i16 s1, s1
	s_add_co_u32 s0, s0, .str.43@rel32@lo+12
	s_wait_alu 0xfffe
	s_add_co_ci_u32 s1, s1, .str.43@rel32@hi+24
	s_getpc_b64 s[2:3]
	s_wait_alu 0xfffe
	s_sext_i32_i16 s3, s3
	s_add_co_u32 s2, s2, .str.44@rel32@lo+12
	s_wait_alu 0xfffe
	s_add_co_ci_u32 s3, s3, .str.44@rel32@hi+24
	s_getpc_b64 s[4:5]
	s_wait_alu 0xfffe
	s_sext_i32_i16 s5, s5
	s_add_co_u32 s4, s4, __PRETTY_FUNCTION__._ZN8subgUtil4SubgILi256EE9addNodeOrEii@rel32@lo+12
	s_wait_alu 0xfffe
	s_add_co_ci_u32 s5, s5, __PRETTY_FUNCTION__._ZN8subgUtil4SubgILi256EE9addNodeOrEii@rel32@hi+24
	v_dual_mov_b32 v0, s0 :: v_dual_mov_b32 v1, s1
	v_dual_mov_b32 v2, s2 :: v_dual_mov_b32 v3, s3
	;; [unrolled: 1-line block ×3, first 2 shown]
	s_wait_alu 0xfffe
	v_mov_b32_e32 v6, s5
	s_getpc_b64 s[6:7]
	s_wait_alu 0xfffe
	s_sext_i32_i16 s7, s7
	s_add_co_u32 s6, s6, __assert_fail@rel32@lo+12
	s_wait_alu 0xfffe
	s_add_co_ci_u32 s7, s7, __assert_fail@rel32@hi+24
	s_mov_b64 s[8:9], s[52:53]
	s_wait_alu 0xfffe
	s_swappc_b64 s[30:31], s[6:7]
	s_or_b32 s17, s34, exec_lo
                                        ; implicit-def: $vgpr0
                                        ; implicit-def: $vgpr41
                                        ; implicit-def: $vgpr42_vgpr43
.LBB6_1102:
	s_wait_alu 0xfffe
	s_or_saveexec_b32 s18, s18
	s_mov_b32 s0, 0
	s_wait_alu 0xfffe
	s_xor_b32 exec_lo, exec_lo, s18
	s_cbranch_execz .LBB6_1298
; %bb.1103:
	v_min_i32_e32 v36, v41, v0
	v_max_i32_e32 v3, v41, v0
	s_delay_alu instid0(VALU_DEP_2) | instskip(NEXT) | instid1(VALU_DEP_2)
	v_xor_b32_e32 v30, 1, v36
	v_xor_b32_e32 v33, 1, v3
	s_delay_alu instid0(VALU_DEP_1)
	v_cmp_gt_i32_e64 s0, v30, v33
	s_and_saveexec_b32 s16, s0
	s_cbranch_execz .LBB6_1293
; %bb.1104:
	s_load_b64 s[2:3], s[52:53], 0x50
	v_mbcnt_lo_u32_b32 v35, -1, 0
	v_mov_b32_e32 v1, 0
	v_mov_b32_e32 v2, 0
	s_delay_alu instid0(VALU_DEP_3) | instskip(SKIP_1) | instid1(VALU_DEP_1)
	v_readfirstlane_b32 s1, v35
	s_wait_alu 0xf1ff
	v_cmp_eq_u32_e64 s1, s1, v35
	s_and_saveexec_b32 s4, s1
	s_cbranch_execz .LBB6_1110
; %bb.1105:
	v_mov_b32_e32 v4, 0
	s_mov_b32 s5, exec_lo
	s_wait_kmcnt 0x0
	global_load_b64 v[7:8], v4, s[2:3] offset:24 scope:SCOPE_SYS
	s_wait_loadcnt 0x0
	global_inv scope:SCOPE_SYS
	s_clause 0x1
	global_load_b64 v[1:2], v4, s[2:3] offset:40
	global_load_b64 v[5:6], v4, s[2:3]
	s_wait_loadcnt 0x1
	v_and_b32_e32 v2, v2, v8
	v_and_b32_e32 v1, v1, v7
	s_delay_alu instid0(VALU_DEP_2) | instskip(NEXT) | instid1(VALU_DEP_2)
	v_mul_lo_u32 v2, 24, v2
	v_mul_lo_u32 v9, 0, v1
	v_mul_hi_u32 v10, 24, v1
	v_mul_lo_u32 v1, 24, v1
	s_delay_alu instid0(VALU_DEP_3) | instskip(SKIP_1) | instid1(VALU_DEP_2)
	v_add_nc_u32_e32 v2, v2, v9
	s_wait_loadcnt 0x0
	v_add_co_u32 v1, vcc_lo, v5, v1
	s_delay_alu instid0(VALU_DEP_2) | instskip(SKIP_1) | instid1(VALU_DEP_1)
	v_add_nc_u32_e32 v2, v2, v10
	s_wait_alu 0xfffd
	v_add_co_ci_u32_e64 v2, null, v6, v2, vcc_lo
	global_load_b64 v[5:6], v[1:2], off scope:SCOPE_SYS
	s_wait_loadcnt 0x0
	global_atomic_cmpswap_b64 v[1:2], v4, v[5:8], s[2:3] offset:24 th:TH_ATOMIC_RETURN scope:SCOPE_SYS
	s_wait_loadcnt 0x0
	global_inv scope:SCOPE_SYS
	v_cmpx_ne_u64_e64 v[1:2], v[7:8]
	s_cbranch_execz .LBB6_1109
; %bb.1106:
	s_mov_b32 s6, 0
.LBB6_1107:                             ; =>This Inner Loop Header: Depth=1
	s_sleep 1
	s_clause 0x1
	global_load_b64 v[5:6], v4, s[2:3] offset:40
	global_load_b64 v[9:10], v4, s[2:3]
	v_dual_mov_b32 v8, v2 :: v_dual_mov_b32 v7, v1
	s_wait_loadcnt 0x1
	s_delay_alu instid0(VALU_DEP_1) | instskip(NEXT) | instid1(VALU_DEP_2)
	v_and_b32_e32 v1, v5, v7
	v_and_b32_e32 v5, v6, v8
	s_wait_loadcnt 0x0
	s_delay_alu instid0(VALU_DEP_2) | instskip(NEXT) | instid1(VALU_DEP_1)
	v_mad_co_u64_u32 v[1:2], null, v1, 24, v[9:10]
	v_mad_co_u64_u32 v[5:6], null, v5, 24, v[2:3]
	s_delay_alu instid0(VALU_DEP_1)
	v_mov_b32_e32 v2, v5
	global_load_b64 v[5:6], v[1:2], off scope:SCOPE_SYS
	s_wait_loadcnt 0x0
	global_atomic_cmpswap_b64 v[1:2], v4, v[5:8], s[2:3] offset:24 th:TH_ATOMIC_RETURN scope:SCOPE_SYS
	s_wait_loadcnt 0x0
	global_inv scope:SCOPE_SYS
	v_cmp_eq_u64_e32 vcc_lo, v[1:2], v[7:8]
	s_wait_alu 0xfffe
	s_or_b32 s6, vcc_lo, s6
	s_wait_alu 0xfffe
	s_and_not1_b32 exec_lo, exec_lo, s6
	s_cbranch_execnz .LBB6_1107
; %bb.1108:
	s_or_b32 exec_lo, exec_lo, s6
.LBB6_1109:
	s_wait_alu 0xfffe
	s_or_b32 exec_lo, exec_lo, s5
.LBB6_1110:
	s_wait_alu 0xfffe
	s_or_b32 exec_lo, exec_lo, s4
	v_readfirstlane_b32 s4, v1
	v_mov_b32_e32 v9, 0
	v_readfirstlane_b32 s5, v2
	s_mov_b32 s6, exec_lo
	s_wait_kmcnt 0x0
	s_clause 0x1
	global_load_b64 v[10:11], v9, s[2:3] offset:40
	global_load_b128 v[4:7], v9, s[2:3]
	s_wait_loadcnt 0x1
	s_wait_alu 0xf1ff
	v_and_b32_e32 v13, s5, v11
	v_and_b32_e32 v12, s4, v10
	s_delay_alu instid0(VALU_DEP_2) | instskip(NEXT) | instid1(VALU_DEP_2)
	v_mul_lo_u32 v1, 24, v13
	v_mul_lo_u32 v2, 0, v12
	v_mul_hi_u32 v8, 24, v12
	v_mul_lo_u32 v10, 24, v12
	s_delay_alu instid0(VALU_DEP_3) | instskip(NEXT) | instid1(VALU_DEP_1)
	v_add_nc_u32_e32 v1, v1, v2
	v_add_nc_u32_e32 v2, v1, v8
	s_wait_loadcnt 0x0
	s_delay_alu instid0(VALU_DEP_3) | instskip(SKIP_1) | instid1(VALU_DEP_2)
	v_add_co_u32 v1, vcc_lo, v4, v10
	s_wait_alu 0xfffd
	v_add_co_ci_u32_e64 v2, null, v5, v2, vcc_lo
	s_and_saveexec_b32 s7, s1
	s_cbranch_execz .LBB6_1112
; %bb.1111:
	s_wait_alu 0xfffe
	v_dual_mov_b32 v8, s6 :: v_dual_mov_b32 v11, 1
	v_mov_b32_e32 v10, 2
	global_store_b128 v[1:2], v[8:11], off offset:8
.LBB6_1112:
	s_wait_alu 0xfffe
	s_or_b32 exec_lo, exec_lo, s7
	v_lshlrev_b64_e32 v[11:12], 12, v[12:13]
	v_lshlrev_b32_e32 v34, 6, v35
	s_mov_b32 s8, 0
	s_wait_alu 0xfffe
	s_mov_b32 s11, s8
	s_mov_b32 s9, s8
	v_add_co_u32 v6, vcc_lo, v6, v11
	s_wait_alu 0xfffd
	v_add_co_ci_u32_e64 v7, null, v7, v12, vcc_lo
	v_mov_b32_e32 v11, v9
	s_delay_alu instid0(VALU_DEP_3)
	v_add_co_u32 v12, vcc_lo, v6, v34
	s_mov_b32 s10, s8
	s_wait_alu 0xfffe
	v_dual_mov_b32 v8, 33 :: v_dual_mov_b32 v17, s11
	v_dual_mov_b32 v10, v9 :: v_dual_mov_b32 v15, s9
	v_readfirstlane_b32 s6, v6
	v_readfirstlane_b32 s7, v7
	s_wait_alu 0xfffd
	v_add_co_ci_u32_e64 v13, null, 0, v7, vcc_lo
	v_mov_b32_e32 v16, s10
	v_mov_b32_e32 v14, s8
	s_clause 0x3
	global_store_b128 v34, v[8:11], s[6:7]
	global_store_b128 v34, v[14:17], s[6:7] offset:16
	global_store_b128 v34, v[14:17], s[6:7] offset:32
	;; [unrolled: 1-line block ×3, first 2 shown]
	s_and_saveexec_b32 s6, s1
	s_cbranch_execz .LBB6_1119
; %bb.1113:
	v_mov_b32_e32 v10, 0
	s_mov_b32 s7, exec_lo
	s_clause 0x1
	global_load_b64 v[16:17], v10, s[2:3] offset:32 scope:SCOPE_SYS
	global_load_b64 v[6:7], v10, s[2:3] offset:40
	v_dual_mov_b32 v15, s5 :: v_dual_mov_b32 v14, s4
	s_wait_loadcnt 0x0
	v_and_b32_e32 v7, s5, v7
	v_and_b32_e32 v6, s4, v6
	s_delay_alu instid0(VALU_DEP_2) | instskip(NEXT) | instid1(VALU_DEP_2)
	v_mul_lo_u32 v7, 24, v7
	v_mul_lo_u32 v8, 0, v6
	v_mul_hi_u32 v9, 24, v6
	v_mul_lo_u32 v6, 24, v6
	s_delay_alu instid0(VALU_DEP_3) | instskip(NEXT) | instid1(VALU_DEP_2)
	v_add_nc_u32_e32 v7, v7, v8
	v_add_co_u32 v8, vcc_lo, v4, v6
	s_delay_alu instid0(VALU_DEP_2) | instskip(SKIP_1) | instid1(VALU_DEP_1)
	v_add_nc_u32_e32 v7, v7, v9
	s_wait_alu 0xfffd
	v_add_co_ci_u32_e64 v9, null, v5, v7, vcc_lo
	global_store_b64 v[8:9], v[16:17], off
	global_wb scope:SCOPE_SYS
	s_wait_storecnt 0x0
	global_atomic_cmpswap_b64 v[6:7], v10, v[14:17], s[2:3] offset:32 th:TH_ATOMIC_RETURN scope:SCOPE_SYS
	s_wait_loadcnt 0x0
	v_cmpx_ne_u64_e64 v[6:7], v[16:17]
	s_cbranch_execz .LBB6_1115
.LBB6_1114:                             ; =>This Inner Loop Header: Depth=1
	v_dual_mov_b32 v4, s4 :: v_dual_mov_b32 v5, s5
	s_sleep 1
	global_store_b64 v[8:9], v[6:7], off
	global_wb scope:SCOPE_SYS
	s_wait_storecnt 0x0
	global_atomic_cmpswap_b64 v[4:5], v10, v[4:7], s[2:3] offset:32 th:TH_ATOMIC_RETURN scope:SCOPE_SYS
	s_wait_loadcnt 0x0
	v_cmp_eq_u64_e32 vcc_lo, v[4:5], v[6:7]
	v_dual_mov_b32 v7, v5 :: v_dual_mov_b32 v6, v4
	s_or_b32 s8, vcc_lo, s8
	s_wait_alu 0xfffe
	s_and_not1_b32 exec_lo, exec_lo, s8
	s_cbranch_execnz .LBB6_1114
.LBB6_1115:
	s_wait_alu 0xfffe
	s_or_b32 exec_lo, exec_lo, s7
	v_mov_b32_e32 v7, 0
	s_mov_b32 s8, exec_lo
	s_mov_b32 s7, exec_lo
	s_wait_alu 0xfffe
	v_mbcnt_lo_u32_b32 v6, s8, 0
	global_load_b64 v[4:5], v7, s[2:3] offset:16
	v_cmpx_eq_u32_e32 0, v6
	s_cbranch_execz .LBB6_1117
; %bb.1116:
	s_bcnt1_i32_b32 s8, s8
	s_wait_alu 0xfffe
	v_mov_b32_e32 v6, s8
	global_wb scope:SCOPE_SYS
	s_wait_loadcnt 0x0
	s_wait_storecnt 0x0
	global_atomic_add_u64 v[4:5], v[6:7], off offset:8 scope:SCOPE_SYS
.LBB6_1117:
	s_or_b32 exec_lo, exec_lo, s7
	s_wait_loadcnt 0x0
	global_load_b64 v[6:7], v[4:5], off offset:16
	s_wait_loadcnt 0x0
	v_cmp_eq_u64_e32 vcc_lo, 0, v[6:7]
	s_cbranch_vccnz .LBB6_1119
; %bb.1118:
	global_load_b32 v4, v[4:5], off offset:24
	v_mov_b32_e32 v5, 0
	s_wait_loadcnt 0x0
	v_readfirstlane_b32 s7, v4
	global_wb scope:SCOPE_SYS
	s_wait_storecnt 0x0
	global_store_b64 v[6:7], v[4:5], off scope:SCOPE_SYS
	s_and_b32 m0, s7, 0xffffff
	s_sendmsg sendmsg(MSG_INTERRUPT)
.LBB6_1119:
	s_wait_alu 0xfffe
	s_or_b32 exec_lo, exec_lo, s6
	s_branch .LBB6_1123
.LBB6_1120:                             ;   in Loop: Header=BB6_1123 Depth=1
	s_wait_alu 0xfffe
	s_or_b32 exec_lo, exec_lo, s6
	s_delay_alu instid0(VALU_DEP_1)
	v_readfirstlane_b32 s6, v4
	s_cmp_eq_u32 s6, 0
	s_cbranch_scc1 .LBB6_1122
; %bb.1121:                             ;   in Loop: Header=BB6_1123 Depth=1
	s_sleep 1
	s_cbranch_execnz .LBB6_1123
	s_branch .LBB6_1125
.LBB6_1122:
	s_branch .LBB6_1125
.LBB6_1123:                             ; =>This Inner Loop Header: Depth=1
	v_mov_b32_e32 v4, 1
	s_and_saveexec_b32 s6, s1
	s_cbranch_execz .LBB6_1120
; %bb.1124:                             ;   in Loop: Header=BB6_1123 Depth=1
	global_load_b32 v4, v[1:2], off offset:20 scope:SCOPE_SYS
	s_wait_loadcnt 0x0
	global_inv scope:SCOPE_SYS
	v_and_b32_e32 v4, 1, v4
	s_branch .LBB6_1120
.LBB6_1125:
	global_load_b64 v[4:5], v[12:13], off
	s_and_saveexec_b32 s6, s1
	s_cbranch_execz .LBB6_1129
; %bb.1126:
	v_mov_b32_e32 v10, 0
	s_clause 0x2
	global_load_b64 v[1:2], v10, s[2:3] offset:40
	global_load_b64 v[13:14], v10, s[2:3] offset:24 scope:SCOPE_SYS
	global_load_b64 v[6:7], v10, s[2:3]
	s_wait_loadcnt 0x2
	v_readfirstlane_b32 s8, v1
	v_readfirstlane_b32 s9, v2
	s_add_nc_u64 s[10:11], s[8:9], 1
	s_wait_alu 0xfffe
	s_add_nc_u64 s[4:5], s[10:11], s[4:5]
	s_wait_alu 0xfffe
	s_cmp_eq_u64 s[4:5], 0
	s_cselect_b32 s5, s11, s5
	s_cselect_b32 s4, s10, s4
	s_wait_alu 0xfffe
	v_mov_b32_e32 v12, s5
	s_and_b64 s[8:9], s[4:5], s[8:9]
	v_mov_b32_e32 v11, s4
	s_wait_alu 0xfffe
	s_mul_u64 s[8:9], s[8:9], 24
	s_wait_loadcnt 0x0
	s_wait_alu 0xfffe
	v_add_co_u32 v1, vcc_lo, v6, s8
	s_wait_alu 0xfffd
	v_add_co_ci_u32_e64 v2, null, s9, v7, vcc_lo
	global_store_b64 v[1:2], v[13:14], off
	global_wb scope:SCOPE_SYS
	s_wait_storecnt 0x0
	global_atomic_cmpswap_b64 v[8:9], v10, v[11:14], s[2:3] offset:24 th:TH_ATOMIC_RETURN scope:SCOPE_SYS
	s_wait_loadcnt 0x0
	v_cmp_ne_u64_e32 vcc_lo, v[8:9], v[13:14]
	s_and_b32 exec_lo, exec_lo, vcc_lo
	s_cbranch_execz .LBB6_1129
; %bb.1127:
	s_mov_b32 s1, 0
.LBB6_1128:                             ; =>This Inner Loop Header: Depth=1
	v_dual_mov_b32 v6, s4 :: v_dual_mov_b32 v7, s5
	s_sleep 1
	global_store_b64 v[1:2], v[8:9], off
	global_wb scope:SCOPE_SYS
	s_wait_storecnt 0x0
	global_atomic_cmpswap_b64 v[6:7], v10, v[6:9], s[2:3] offset:24 th:TH_ATOMIC_RETURN scope:SCOPE_SYS
	s_wait_loadcnt 0x0
	v_cmp_eq_u64_e32 vcc_lo, v[6:7], v[8:9]
	v_dual_mov_b32 v9, v7 :: v_dual_mov_b32 v8, v6
	s_wait_alu 0xfffe
	s_or_b32 s1, vcc_lo, s1
	s_wait_alu 0xfffe
	s_and_not1_b32 exec_lo, exec_lo, s1
	s_cbranch_execnz .LBB6_1128
.LBB6_1129:
	s_wait_alu 0xfffe
	s_or_b32 exec_lo, exec_lo, s6
	s_getpc_b64 s[4:5]
	s_wait_alu 0xfffe
	s_sext_i32_i16 s5, s5
	s_add_co_u32 s4, s4, .str.45@rel32@lo+12
	s_wait_alu 0xfffe
	s_add_co_ci_u32 s5, s5, .str.45@rel32@hi+24
	s_wait_alu 0xfffe
	s_cmp_lg_u64 s[4:5], 0
	s_cbranch_scc0 .LBB6_1215
; %bb.1130:
	s_wait_loadcnt 0x0
	v_dual_mov_b32 v12, 2 :: v_dual_and_b32 v37, 2, v4
	v_dual_mov_b32 v11, 0 :: v_dual_and_b32 v6, -3, v4
	v_mov_b32_e32 v7, v5
	v_mov_b32_e32 v13, 1
	s_mov_b64 s[6:7], 7
	s_branch .LBB6_1132
.LBB6_1131:                             ;   in Loop: Header=BB6_1132 Depth=1
	s_wait_alu 0xfffe
	s_or_b32 exec_lo, exec_lo, s12
	s_sub_nc_u64 s[6:7], s[6:7], s[8:9]
	s_add_nc_u64 s[4:5], s[4:5], s[8:9]
	s_wait_alu 0xfffe
	s_cmp_lg_u64 s[6:7], 0
	s_cbranch_scc0 .LBB6_1214
.LBB6_1132:                             ; =>This Loop Header: Depth=1
                                        ;     Child Loop BB6_1135 Depth 2
                                        ;     Child Loop BB6_1143 Depth 2
	;; [unrolled: 1-line block ×11, first 2 shown]
	s_wait_alu 0xfffe
	v_cmp_lt_u64_e64 s1, s[6:7], 56
	v_cmp_gt_u64_e64 s10, s[6:7], 7
	s_and_b32 s1, s1, exec_lo
	s_cselect_b32 s9, s7, 0
	s_cselect_b32 s8, s6, 56
	s_and_b32 vcc_lo, exec_lo, s10
	s_wait_alu 0xfffe
	s_cbranch_vccnz .LBB6_1137
; %bb.1133:                             ;   in Loop: Header=BB6_1132 Depth=1
	v_mov_b32_e32 v8, 0
	v_mov_b32_e32 v9, 0
	s_cmp_eq_u64 s[6:7], 0
	s_cbranch_scc1 .LBB6_1136
; %bb.1134:                             ;   in Loop: Header=BB6_1132 Depth=1
	s_mov_b64 s[10:11], 0
	s_mov_b64 s[12:13], 0
.LBB6_1135:                             ;   Parent Loop BB6_1132 Depth=1
                                        ; =>  This Inner Loop Header: Depth=2
	s_wait_alu 0xfffe
	s_add_nc_u64 s[14:15], s[4:5], s[12:13]
	s_add_nc_u64 s[12:13], s[12:13], 1
	global_load_u8 v1, v11, s[14:15]
	s_wait_alu 0xfffe
	s_cmp_lg_u32 s8, s12
	s_wait_loadcnt 0x0
	v_and_b32_e32 v10, 0xffff, v1
	s_delay_alu instid0(VALU_DEP_1) | instskip(SKIP_1) | instid1(VALU_DEP_1)
	v_lshlrev_b64_e32 v[1:2], s10, v[10:11]
	s_add_nc_u64 s[10:11], s[10:11], 8
	v_or_b32_e32 v8, v1, v8
	s_delay_alu instid0(VALU_DEP_2)
	v_or_b32_e32 v9, v2, v9
	s_cbranch_scc1 .LBB6_1135
.LBB6_1136:                             ;   in Loop: Header=BB6_1132 Depth=1
	s_mov_b32 s1, 0
	s_mov_b64 s[12:13], s[4:5]
	s_branch .LBB6_1138
.LBB6_1137:                             ;   in Loop: Header=BB6_1132 Depth=1
	s_add_nc_u64 s[12:13], s[4:5], 8
	s_mov_b32 s1, -1
.LBB6_1138:                             ;   in Loop: Header=BB6_1132 Depth=1
	s_wait_alu 0xfffe
	s_and_not1_b32 vcc_lo, exec_lo, s1
	s_mov_b32 s1, 0
	s_wait_alu 0xfffe
	s_cbranch_vccnz .LBB6_1140
; %bb.1139:                             ;   in Loop: Header=BB6_1132 Depth=1
	global_load_b64 v[8:9], v11, s[4:5]
	s_add_co_i32 s1, s8, -8
.LBB6_1140:                             ;   in Loop: Header=BB6_1132 Depth=1
	s_wait_alu 0xfffe
	s_cmp_gt_u32 s1, 7
	s_cbranch_scc1 .LBB6_1145
; %bb.1141:                             ;   in Loop: Header=BB6_1132 Depth=1
	v_mov_b32_e32 v14, 0
	v_mov_b32_e32 v15, 0
	s_cmp_eq_u32 s1, 0
	s_cbranch_scc1 .LBB6_1144
; %bb.1142:                             ;   in Loop: Header=BB6_1132 Depth=1
	s_mov_b64 s[10:11], 0
	s_mov_b64 s[14:15], 0
.LBB6_1143:                             ;   Parent Loop BB6_1132 Depth=1
                                        ; =>  This Inner Loop Header: Depth=2
	s_wait_alu 0xfffe
	s_add_nc_u64 s[20:21], s[12:13], s[14:15]
	s_add_nc_u64 s[14:15], s[14:15], 1
	global_load_u8 v1, v11, s[20:21]
	s_wait_alu 0xfffe
	s_cmp_lg_u32 s1, s14
	s_wait_loadcnt 0x0
	v_and_b32_e32 v10, 0xffff, v1
	s_delay_alu instid0(VALU_DEP_1) | instskip(SKIP_1) | instid1(VALU_DEP_1)
	v_lshlrev_b64_e32 v[1:2], s10, v[10:11]
	s_add_nc_u64 s[10:11], s[10:11], 8
	v_or_b32_e32 v14, v1, v14
	s_delay_alu instid0(VALU_DEP_2)
	v_or_b32_e32 v15, v2, v15
	s_cbranch_scc1 .LBB6_1143
.LBB6_1144:                             ;   in Loop: Header=BB6_1132 Depth=1
	s_mov_b32 s14, 0
	s_mov_b64 s[10:11], s[12:13]
	s_branch .LBB6_1146
.LBB6_1145:                             ;   in Loop: Header=BB6_1132 Depth=1
	s_add_nc_u64 s[10:11], s[12:13], 8
	s_mov_b32 s14, -1
                                        ; implicit-def: $vgpr14_vgpr15
.LBB6_1146:                             ;   in Loop: Header=BB6_1132 Depth=1
	s_wait_alu 0xfffe
	s_and_not1_b32 vcc_lo, exec_lo, s14
	s_mov_b32 s19, 0
	s_wait_alu 0xfffe
	s_cbranch_vccnz .LBB6_1148
; %bb.1147:                             ;   in Loop: Header=BB6_1132 Depth=1
	global_load_b64 v[14:15], v11, s[12:13]
	s_add_co_i32 s19, s1, -8
.LBB6_1148:                             ;   in Loop: Header=BB6_1132 Depth=1
	s_wait_alu 0xfffe
	s_cmp_gt_u32 s19, 7
	s_cbranch_scc1 .LBB6_1153
; %bb.1149:                             ;   in Loop: Header=BB6_1132 Depth=1
	v_mov_b32_e32 v16, 0
	v_mov_b32_e32 v17, 0
	s_cmp_eq_u32 s19, 0
	s_cbranch_scc1 .LBB6_1152
; %bb.1150:                             ;   in Loop: Header=BB6_1132 Depth=1
	s_mov_b64 s[12:13], 0
	s_mov_b64 s[14:15], 0
.LBB6_1151:                             ;   Parent Loop BB6_1132 Depth=1
                                        ; =>  This Inner Loop Header: Depth=2
	s_wait_alu 0xfffe
	s_add_nc_u64 s[20:21], s[10:11], s[14:15]
	s_add_nc_u64 s[14:15], s[14:15], 1
	global_load_u8 v1, v11, s[20:21]
	s_wait_alu 0xfffe
	s_cmp_lg_u32 s19, s14
	s_wait_loadcnt 0x0
	v_and_b32_e32 v10, 0xffff, v1
	s_delay_alu instid0(VALU_DEP_1) | instskip(SKIP_1) | instid1(VALU_DEP_1)
	v_lshlrev_b64_e32 v[1:2], s12, v[10:11]
	s_add_nc_u64 s[12:13], s[12:13], 8
	v_or_b32_e32 v16, v1, v16
	s_delay_alu instid0(VALU_DEP_2)
	v_or_b32_e32 v17, v2, v17
	s_cbranch_scc1 .LBB6_1151
.LBB6_1152:                             ;   in Loop: Header=BB6_1132 Depth=1
	s_mov_b32 s1, 0
	s_mov_b64 s[12:13], s[10:11]
	s_branch .LBB6_1154
.LBB6_1153:                             ;   in Loop: Header=BB6_1132 Depth=1
	s_add_nc_u64 s[12:13], s[10:11], 8
	s_mov_b32 s1, -1
.LBB6_1154:                             ;   in Loop: Header=BB6_1132 Depth=1
	s_wait_alu 0xfffe
	s_and_not1_b32 vcc_lo, exec_lo, s1
	s_mov_b32 s1, 0
	s_wait_alu 0xfffe
	s_cbranch_vccnz .LBB6_1156
; %bb.1155:                             ;   in Loop: Header=BB6_1132 Depth=1
	global_load_b64 v[16:17], v11, s[10:11]
	s_add_co_i32 s1, s19, -8
.LBB6_1156:                             ;   in Loop: Header=BB6_1132 Depth=1
	s_wait_alu 0xfffe
	s_cmp_gt_u32 s1, 7
	s_cbranch_scc1 .LBB6_1161
; %bb.1157:                             ;   in Loop: Header=BB6_1132 Depth=1
	v_mov_b32_e32 v18, 0
	v_mov_b32_e32 v19, 0
	s_cmp_eq_u32 s1, 0
	s_cbranch_scc1 .LBB6_1160
; %bb.1158:                             ;   in Loop: Header=BB6_1132 Depth=1
	s_mov_b64 s[10:11], 0
	s_mov_b64 s[14:15], 0
.LBB6_1159:                             ;   Parent Loop BB6_1132 Depth=1
                                        ; =>  This Inner Loop Header: Depth=2
	s_wait_alu 0xfffe
	s_add_nc_u64 s[20:21], s[12:13], s[14:15]
	s_add_nc_u64 s[14:15], s[14:15], 1
	global_load_u8 v1, v11, s[20:21]
	s_wait_alu 0xfffe
	s_cmp_lg_u32 s1, s14
	s_wait_loadcnt 0x0
	v_and_b32_e32 v10, 0xffff, v1
	s_delay_alu instid0(VALU_DEP_1) | instskip(SKIP_1) | instid1(VALU_DEP_1)
	v_lshlrev_b64_e32 v[1:2], s10, v[10:11]
	s_add_nc_u64 s[10:11], s[10:11], 8
	v_or_b32_e32 v18, v1, v18
	s_delay_alu instid0(VALU_DEP_2)
	v_or_b32_e32 v19, v2, v19
	s_cbranch_scc1 .LBB6_1159
.LBB6_1160:                             ;   in Loop: Header=BB6_1132 Depth=1
	s_mov_b32 s14, 0
	s_mov_b64 s[10:11], s[12:13]
	s_branch .LBB6_1162
.LBB6_1161:                             ;   in Loop: Header=BB6_1132 Depth=1
	s_add_nc_u64 s[10:11], s[12:13], 8
	s_mov_b32 s14, -1
                                        ; implicit-def: $vgpr18_vgpr19
.LBB6_1162:                             ;   in Loop: Header=BB6_1132 Depth=1
	s_wait_alu 0xfffe
	s_and_not1_b32 vcc_lo, exec_lo, s14
	s_mov_b32 s19, 0
	s_wait_alu 0xfffe
	s_cbranch_vccnz .LBB6_1164
; %bb.1163:                             ;   in Loop: Header=BB6_1132 Depth=1
	global_load_b64 v[18:19], v11, s[12:13]
	s_add_co_i32 s19, s1, -8
.LBB6_1164:                             ;   in Loop: Header=BB6_1132 Depth=1
	s_wait_alu 0xfffe
	s_cmp_gt_u32 s19, 7
	s_cbranch_scc1 .LBB6_1169
; %bb.1165:                             ;   in Loop: Header=BB6_1132 Depth=1
	v_mov_b32_e32 v20, 0
	v_mov_b32_e32 v21, 0
	s_cmp_eq_u32 s19, 0
	s_cbranch_scc1 .LBB6_1168
; %bb.1166:                             ;   in Loop: Header=BB6_1132 Depth=1
	s_mov_b64 s[12:13], 0
	s_mov_b64 s[14:15], 0
.LBB6_1167:                             ;   Parent Loop BB6_1132 Depth=1
                                        ; =>  This Inner Loop Header: Depth=2
	s_wait_alu 0xfffe
	s_add_nc_u64 s[20:21], s[10:11], s[14:15]
	s_add_nc_u64 s[14:15], s[14:15], 1
	global_load_u8 v1, v11, s[20:21]
	s_wait_alu 0xfffe
	s_cmp_lg_u32 s19, s14
	s_wait_loadcnt 0x0
	v_and_b32_e32 v10, 0xffff, v1
	s_delay_alu instid0(VALU_DEP_1) | instskip(SKIP_1) | instid1(VALU_DEP_1)
	v_lshlrev_b64_e32 v[1:2], s12, v[10:11]
	s_add_nc_u64 s[12:13], s[12:13], 8
	v_or_b32_e32 v20, v1, v20
	s_delay_alu instid0(VALU_DEP_2)
	v_or_b32_e32 v21, v2, v21
	s_cbranch_scc1 .LBB6_1167
.LBB6_1168:                             ;   in Loop: Header=BB6_1132 Depth=1
	s_mov_b32 s1, 0
	s_mov_b64 s[12:13], s[10:11]
	s_branch .LBB6_1170
.LBB6_1169:                             ;   in Loop: Header=BB6_1132 Depth=1
	s_add_nc_u64 s[12:13], s[10:11], 8
	s_mov_b32 s1, -1
.LBB6_1170:                             ;   in Loop: Header=BB6_1132 Depth=1
	s_wait_alu 0xfffe
	s_and_not1_b32 vcc_lo, exec_lo, s1
	s_mov_b32 s1, 0
	s_wait_alu 0xfffe
	s_cbranch_vccnz .LBB6_1172
; %bb.1171:                             ;   in Loop: Header=BB6_1132 Depth=1
	global_load_b64 v[20:21], v11, s[10:11]
	s_add_co_i32 s1, s19, -8
.LBB6_1172:                             ;   in Loop: Header=BB6_1132 Depth=1
	s_wait_alu 0xfffe
	s_cmp_gt_u32 s1, 7
	s_cbranch_scc1 .LBB6_1177
; %bb.1173:                             ;   in Loop: Header=BB6_1132 Depth=1
	v_mov_b32_e32 v22, 0
	v_mov_b32_e32 v23, 0
	s_cmp_eq_u32 s1, 0
	s_cbranch_scc1 .LBB6_1176
; %bb.1174:                             ;   in Loop: Header=BB6_1132 Depth=1
	s_mov_b64 s[10:11], 0
	s_mov_b64 s[14:15], 0
.LBB6_1175:                             ;   Parent Loop BB6_1132 Depth=1
                                        ; =>  This Inner Loop Header: Depth=2
	s_wait_alu 0xfffe
	s_add_nc_u64 s[20:21], s[12:13], s[14:15]
	s_add_nc_u64 s[14:15], s[14:15], 1
	global_load_u8 v1, v11, s[20:21]
	s_wait_alu 0xfffe
	s_cmp_lg_u32 s1, s14
	s_wait_loadcnt 0x0
	v_and_b32_e32 v10, 0xffff, v1
	s_delay_alu instid0(VALU_DEP_1) | instskip(SKIP_1) | instid1(VALU_DEP_1)
	v_lshlrev_b64_e32 v[1:2], s10, v[10:11]
	s_add_nc_u64 s[10:11], s[10:11], 8
	v_or_b32_e32 v22, v1, v22
	s_delay_alu instid0(VALU_DEP_2)
	v_or_b32_e32 v23, v2, v23
	s_cbranch_scc1 .LBB6_1175
.LBB6_1176:                             ;   in Loop: Header=BB6_1132 Depth=1
	s_mov_b32 s14, 0
	s_mov_b64 s[10:11], s[12:13]
	s_branch .LBB6_1178
.LBB6_1177:                             ;   in Loop: Header=BB6_1132 Depth=1
	s_add_nc_u64 s[10:11], s[12:13], 8
	s_mov_b32 s14, -1
                                        ; implicit-def: $vgpr22_vgpr23
.LBB6_1178:                             ;   in Loop: Header=BB6_1132 Depth=1
	s_wait_alu 0xfffe
	s_and_not1_b32 vcc_lo, exec_lo, s14
	s_mov_b32 s19, 0
	s_wait_alu 0xfffe
	s_cbranch_vccnz .LBB6_1180
; %bb.1179:                             ;   in Loop: Header=BB6_1132 Depth=1
	global_load_b64 v[22:23], v11, s[12:13]
	s_add_co_i32 s19, s1, -8
.LBB6_1180:                             ;   in Loop: Header=BB6_1132 Depth=1
	s_wait_alu 0xfffe
	s_cmp_gt_u32 s19, 7
	s_cbranch_scc1 .LBB6_1185
; %bb.1181:                             ;   in Loop: Header=BB6_1132 Depth=1
	v_mov_b32_e32 v24, 0
	v_mov_b32_e32 v25, 0
	s_cmp_eq_u32 s19, 0
	s_cbranch_scc1 .LBB6_1184
; %bb.1182:                             ;   in Loop: Header=BB6_1132 Depth=1
	s_mov_b64 s[12:13], 0
	s_mov_b64 s[14:15], s[10:11]
.LBB6_1183:                             ;   Parent Loop BB6_1132 Depth=1
                                        ; =>  This Inner Loop Header: Depth=2
	global_load_u8 v1, v11, s[14:15]
	s_add_co_i32 s19, s19, -1
	s_wait_alu 0xfffe
	s_add_nc_u64 s[14:15], s[14:15], 1
	s_cmp_lg_u32 s19, 0
	s_wait_loadcnt 0x0
	v_and_b32_e32 v10, 0xffff, v1
	s_delay_alu instid0(VALU_DEP_1) | instskip(SKIP_1) | instid1(VALU_DEP_1)
	v_lshlrev_b64_e32 v[1:2], s12, v[10:11]
	s_add_nc_u64 s[12:13], s[12:13], 8
	v_or_b32_e32 v24, v1, v24
	s_delay_alu instid0(VALU_DEP_2)
	v_or_b32_e32 v25, v2, v25
	s_cbranch_scc1 .LBB6_1183
.LBB6_1184:                             ;   in Loop: Header=BB6_1132 Depth=1
	s_mov_b32 s1, 0
	s_branch .LBB6_1186
.LBB6_1185:                             ;   in Loop: Header=BB6_1132 Depth=1
	s_mov_b32 s1, -1
.LBB6_1186:                             ;   in Loop: Header=BB6_1132 Depth=1
	s_wait_alu 0xfffe
	s_and_not1_b32 vcc_lo, exec_lo, s1
	s_wait_alu 0xfffe
	s_cbranch_vccnz .LBB6_1188
; %bb.1187:                             ;   in Loop: Header=BB6_1132 Depth=1
	global_load_b64 v[24:25], v11, s[10:11]
.LBB6_1188:                             ;   in Loop: Header=BB6_1132 Depth=1
	v_readfirstlane_b32 s1, v35
	v_mov_b32_e32 v1, 0
	v_mov_b32_e32 v2, 0
	s_wait_alu 0xf1ff
	s_delay_alu instid0(VALU_DEP_3)
	v_cmp_eq_u32_e64 s1, s1, v35
	s_and_saveexec_b32 s10, s1
	s_cbranch_execz .LBB6_1194
; %bb.1189:                             ;   in Loop: Header=BB6_1132 Depth=1
	global_load_b64 v[28:29], v11, s[2:3] offset:24 scope:SCOPE_SYS
	s_wait_loadcnt 0x0
	global_inv scope:SCOPE_SYS
	s_clause 0x1
	global_load_b64 v[1:2], v11, s[2:3] offset:40
	global_load_b64 v[26:27], v11, s[2:3]
	s_mov_b32 s11, exec_lo
	s_wait_loadcnt 0x1
	v_and_b32_e32 v2, v2, v29
	v_and_b32_e32 v1, v1, v28
	s_delay_alu instid0(VALU_DEP_2) | instskip(NEXT) | instid1(VALU_DEP_2)
	v_mul_lo_u32 v2, 24, v2
	v_mul_lo_u32 v10, 0, v1
	v_mul_hi_u32 v31, 24, v1
	v_mul_lo_u32 v1, 24, v1
	s_delay_alu instid0(VALU_DEP_3) | instskip(SKIP_1) | instid1(VALU_DEP_2)
	v_add_nc_u32_e32 v2, v2, v10
	s_wait_loadcnt 0x0
	v_add_co_u32 v1, vcc_lo, v26, v1
	s_delay_alu instid0(VALU_DEP_2) | instskip(SKIP_1) | instid1(VALU_DEP_1)
	v_add_nc_u32_e32 v2, v2, v31
	s_wait_alu 0xfffd
	v_add_co_ci_u32_e64 v2, null, v27, v2, vcc_lo
	global_load_b64 v[26:27], v[1:2], off scope:SCOPE_SYS
	s_wait_loadcnt 0x0
	global_atomic_cmpswap_b64 v[1:2], v11, v[26:29], s[2:3] offset:24 th:TH_ATOMIC_RETURN scope:SCOPE_SYS
	s_wait_loadcnt 0x0
	global_inv scope:SCOPE_SYS
	v_cmpx_ne_u64_e64 v[1:2], v[28:29]
	s_cbranch_execz .LBB6_1193
; %bb.1190:                             ;   in Loop: Header=BB6_1132 Depth=1
	s_mov_b32 s12, 0
.LBB6_1191:                             ;   Parent Loop BB6_1132 Depth=1
                                        ; =>  This Inner Loop Header: Depth=2
	s_sleep 1
	s_clause 0x1
	global_load_b64 v[26:27], v11, s[2:3] offset:40
	global_load_b64 v[31:32], v11, s[2:3]
	v_dual_mov_b32 v29, v2 :: v_dual_mov_b32 v28, v1
	s_wait_loadcnt 0x1
	s_delay_alu instid0(VALU_DEP_1) | instskip(NEXT) | instid1(VALU_DEP_2)
	v_and_b32_e32 v1, v26, v28
	v_and_b32_e32 v10, v27, v29
	s_wait_loadcnt 0x0
	s_delay_alu instid0(VALU_DEP_2) | instskip(NEXT) | instid1(VALU_DEP_1)
	v_mad_co_u64_u32 v[1:2], null, v1, 24, v[31:32]
	v_mad_co_u64_u32 v[26:27], null, v10, 24, v[2:3]
	s_delay_alu instid0(VALU_DEP_1)
	v_mov_b32_e32 v2, v26
	global_load_b64 v[26:27], v[1:2], off scope:SCOPE_SYS
	s_wait_loadcnt 0x0
	global_atomic_cmpswap_b64 v[1:2], v11, v[26:29], s[2:3] offset:24 th:TH_ATOMIC_RETURN scope:SCOPE_SYS
	s_wait_loadcnt 0x0
	global_inv scope:SCOPE_SYS
	v_cmp_eq_u64_e32 vcc_lo, v[1:2], v[28:29]
	s_wait_alu 0xfffe
	s_or_b32 s12, vcc_lo, s12
	s_wait_alu 0xfffe
	s_and_not1_b32 exec_lo, exec_lo, s12
	s_cbranch_execnz .LBB6_1191
; %bb.1192:                             ;   in Loop: Header=BB6_1132 Depth=1
	s_or_b32 exec_lo, exec_lo, s12
.LBB6_1193:                             ;   in Loop: Header=BB6_1132 Depth=1
	s_wait_alu 0xfffe
	s_or_b32 exec_lo, exec_lo, s11
.LBB6_1194:                             ;   in Loop: Header=BB6_1132 Depth=1
	s_wait_alu 0xfffe
	s_or_b32 exec_lo, exec_lo, s10
	s_clause 0x1
	global_load_b64 v[31:32], v11, s[2:3] offset:40
	global_load_b128 v[26:29], v11, s[2:3]
	v_readfirstlane_b32 s11, v2
	v_readfirstlane_b32 s10, v1
	s_mov_b32 s12, exec_lo
	s_wait_loadcnt 0x1
	s_wait_alu 0xf1ff
	v_and_b32_e32 v32, s11, v32
	v_and_b32_e32 v31, s10, v31
	s_delay_alu instid0(VALU_DEP_2) | instskip(NEXT) | instid1(VALU_DEP_2)
	v_mul_lo_u32 v1, 24, v32
	v_mul_lo_u32 v2, 0, v31
	v_mul_hi_u32 v10, 24, v31
	v_mul_lo_u32 v38, 24, v31
	s_delay_alu instid0(VALU_DEP_3) | instskip(NEXT) | instid1(VALU_DEP_1)
	v_add_nc_u32_e32 v1, v1, v2
	v_add_nc_u32_e32 v2, v1, v10
	s_wait_loadcnt 0x0
	s_delay_alu instid0(VALU_DEP_3) | instskip(SKIP_1) | instid1(VALU_DEP_2)
	v_add_co_u32 v1, vcc_lo, v26, v38
	s_wait_alu 0xfffd
	v_add_co_ci_u32_e64 v2, null, v27, v2, vcc_lo
	s_and_saveexec_b32 s13, s1
	s_cbranch_execz .LBB6_1196
; %bb.1195:                             ;   in Loop: Header=BB6_1132 Depth=1
	s_wait_alu 0xfffe
	v_mov_b32_e32 v10, s12
	global_store_b128 v[1:2], v[10:13], off offset:8
.LBB6_1196:                             ;   in Loop: Header=BB6_1132 Depth=1
	s_wait_alu 0xfffe
	s_or_b32 exec_lo, exec_lo, s13
	v_cmp_lt_u64_e64 vcc_lo, s[6:7], 57
	v_lshlrev_b64_e32 v[31:32], 12, v[31:32]
	v_and_b32_e32 v6, 0xffffff1f, v6
	s_lshl_b32 s12, s8, 2
	s_wait_alu 0xfffe
	s_add_co_i32 s12, s12, 28
	s_wait_alu 0xfffd
	v_cndmask_b32_e32 v10, 0, v37, vcc_lo
	v_add_co_u32 v28, vcc_lo, v28, v31
	s_wait_alu 0xfffd
	v_add_co_ci_u32_e64 v29, null, v29, v32, vcc_lo
	s_delay_alu instid0(VALU_DEP_3) | instskip(NEXT) | instid1(VALU_DEP_2)
	v_or_b32_e32 v6, v6, v10
	v_readfirstlane_b32 s13, v29
	s_wait_alu 0xfffe
	s_delay_alu instid0(VALU_DEP_2)
	v_and_or_b32 v6, 0x1e0, s12, v6
	v_readfirstlane_b32 s12, v28
	s_clause 0x3
	global_store_b128 v34, v[6:9], s[12:13]
	global_store_b128 v34, v[14:17], s[12:13] offset:16
	global_store_b128 v34, v[18:21], s[12:13] offset:32
	;; [unrolled: 1-line block ×3, first 2 shown]
	s_and_saveexec_b32 s12, s1
	s_cbranch_execz .LBB6_1204
; %bb.1197:                             ;   in Loop: Header=BB6_1132 Depth=1
	s_clause 0x1
	global_load_b64 v[18:19], v11, s[2:3] offset:32 scope:SCOPE_SYS
	global_load_b64 v[6:7], v11, s[2:3] offset:40
	s_mov_b32 s13, exec_lo
	v_dual_mov_b32 v16, s10 :: v_dual_mov_b32 v17, s11
	s_wait_loadcnt 0x0
	v_and_b32_e32 v6, s10, v6
	v_and_b32_e32 v7, s11, v7
	s_delay_alu instid0(VALU_DEP_2) | instskip(NEXT) | instid1(VALU_DEP_2)
	v_mul_lo_u32 v8, 0, v6
	v_mul_lo_u32 v7, 24, v7
	v_mul_hi_u32 v9, 24, v6
	v_mul_lo_u32 v6, 24, v6
	s_delay_alu instid0(VALU_DEP_3) | instskip(NEXT) | instid1(VALU_DEP_2)
	v_add_nc_u32_e32 v7, v7, v8
	v_add_co_u32 v14, vcc_lo, v26, v6
	s_delay_alu instid0(VALU_DEP_2) | instskip(SKIP_1) | instid1(VALU_DEP_1)
	v_add_nc_u32_e32 v7, v7, v9
	s_wait_alu 0xfffd
	v_add_co_ci_u32_e64 v15, null, v27, v7, vcc_lo
	global_store_b64 v[14:15], v[18:19], off
	global_wb scope:SCOPE_SYS
	s_wait_storecnt 0x0
	global_atomic_cmpswap_b64 v[8:9], v11, v[16:19], s[2:3] offset:32 th:TH_ATOMIC_RETURN scope:SCOPE_SYS
	s_wait_loadcnt 0x0
	v_cmpx_ne_u64_e64 v[8:9], v[18:19]
	s_cbranch_execz .LBB6_1200
; %bb.1198:                             ;   in Loop: Header=BB6_1132 Depth=1
	s_mov_b32 s14, 0
.LBB6_1199:                             ;   Parent Loop BB6_1132 Depth=1
                                        ; =>  This Inner Loop Header: Depth=2
	v_dual_mov_b32 v6, s10 :: v_dual_mov_b32 v7, s11
	s_sleep 1
	global_store_b64 v[14:15], v[8:9], off
	global_wb scope:SCOPE_SYS
	s_wait_storecnt 0x0
	global_atomic_cmpswap_b64 v[6:7], v11, v[6:9], s[2:3] offset:32 th:TH_ATOMIC_RETURN scope:SCOPE_SYS
	s_wait_loadcnt 0x0
	v_cmp_eq_u64_e32 vcc_lo, v[6:7], v[8:9]
	v_dual_mov_b32 v9, v7 :: v_dual_mov_b32 v8, v6
	s_wait_alu 0xfffe
	s_or_b32 s14, vcc_lo, s14
	s_wait_alu 0xfffe
	s_and_not1_b32 exec_lo, exec_lo, s14
	s_cbranch_execnz .LBB6_1199
.LBB6_1200:                             ;   in Loop: Header=BB6_1132 Depth=1
	s_wait_alu 0xfffe
	s_or_b32 exec_lo, exec_lo, s13
	global_load_b64 v[6:7], v11, s[2:3] offset:16
	s_mov_b32 s14, exec_lo
	s_mov_b32 s13, exec_lo
	s_wait_alu 0xfffe
	v_mbcnt_lo_u32_b32 v8, s14, 0
	s_delay_alu instid0(VALU_DEP_1)
	v_cmpx_eq_u32_e32 0, v8
	s_cbranch_execz .LBB6_1202
; %bb.1201:                             ;   in Loop: Header=BB6_1132 Depth=1
	s_bcnt1_i32_b32 s14, s14
	s_wait_alu 0xfffe
	v_mov_b32_e32 v10, s14
	global_wb scope:SCOPE_SYS
	s_wait_loadcnt 0x0
	s_wait_storecnt 0x0
	global_atomic_add_u64 v[6:7], v[10:11], off offset:8 scope:SCOPE_SYS
.LBB6_1202:                             ;   in Loop: Header=BB6_1132 Depth=1
	s_or_b32 exec_lo, exec_lo, s13
	s_wait_loadcnt 0x0
	global_load_b64 v[8:9], v[6:7], off offset:16
	s_wait_loadcnt 0x0
	v_cmp_eq_u64_e32 vcc_lo, 0, v[8:9]
	s_cbranch_vccnz .LBB6_1204
; %bb.1203:                             ;   in Loop: Header=BB6_1132 Depth=1
	global_load_b32 v10, v[6:7], off offset:24
	s_wait_loadcnt 0x0
	v_readfirstlane_b32 s13, v10
	global_wb scope:SCOPE_SYS
	s_wait_storecnt 0x0
	global_store_b64 v[8:9], v[10:11], off scope:SCOPE_SYS
	s_and_b32 m0, s13, 0xffffff
	s_sendmsg sendmsg(MSG_INTERRUPT)
.LBB6_1204:                             ;   in Loop: Header=BB6_1132 Depth=1
	s_wait_alu 0xfffe
	s_or_b32 exec_lo, exec_lo, s12
	v_add_co_u32 v6, vcc_lo, v28, v34
	s_wait_alu 0xfffd
	v_add_co_ci_u32_e64 v7, null, 0, v29, vcc_lo
	s_branch .LBB6_1208
.LBB6_1205:                             ;   in Loop: Header=BB6_1208 Depth=2
	s_wait_alu 0xfffe
	s_or_b32 exec_lo, exec_lo, s12
	s_delay_alu instid0(VALU_DEP_1)
	v_readfirstlane_b32 s12, v8
	s_cmp_eq_u32 s12, 0
	s_cbranch_scc1 .LBB6_1207
; %bb.1206:                             ;   in Loop: Header=BB6_1208 Depth=2
	s_sleep 1
	s_cbranch_execnz .LBB6_1208
	s_branch .LBB6_1210
.LBB6_1207:                             ;   in Loop: Header=BB6_1132 Depth=1
	s_branch .LBB6_1210
.LBB6_1208:                             ;   Parent Loop BB6_1132 Depth=1
                                        ; =>  This Inner Loop Header: Depth=2
	v_mov_b32_e32 v8, 1
	s_and_saveexec_b32 s12, s1
	s_cbranch_execz .LBB6_1205
; %bb.1209:                             ;   in Loop: Header=BB6_1208 Depth=2
	global_load_b32 v8, v[1:2], off offset:20 scope:SCOPE_SYS
	s_wait_loadcnt 0x0
	global_inv scope:SCOPE_SYS
	v_and_b32_e32 v8, 1, v8
	s_branch .LBB6_1205
.LBB6_1210:                             ;   in Loop: Header=BB6_1132 Depth=1
	global_load_b64 v[6:7], v[6:7], off
	s_and_saveexec_b32 s12, s1
	s_cbranch_execz .LBB6_1131
; %bb.1211:                             ;   in Loop: Header=BB6_1132 Depth=1
	s_clause 0x2
	global_load_b64 v[1:2], v11, s[2:3] offset:40
	global_load_b64 v[18:19], v11, s[2:3] offset:24 scope:SCOPE_SYS
	global_load_b64 v[8:9], v11, s[2:3]
	s_wait_loadcnt 0x2
	v_readfirstlane_b32 s14, v1
	v_readfirstlane_b32 s15, v2
	s_add_nc_u64 s[20:21], s[14:15], 1
	s_wait_alu 0xfffe
	s_add_nc_u64 s[10:11], s[20:21], s[10:11]
	s_wait_alu 0xfffe
	s_cmp_eq_u64 s[10:11], 0
	s_cselect_b32 s11, s21, s11
	s_cselect_b32 s10, s20, s10
	s_wait_alu 0xfffe
	v_dual_mov_b32 v17, s11 :: v_dual_mov_b32 v16, s10
	s_and_b64 s[14:15], s[10:11], s[14:15]
	s_wait_alu 0xfffe
	s_mul_u64 s[14:15], s[14:15], 24
	s_wait_loadcnt 0x0
	s_wait_alu 0xfffe
	v_add_co_u32 v1, vcc_lo, v8, s14
	s_wait_alu 0xfffd
	v_add_co_ci_u32_e64 v2, null, s15, v9, vcc_lo
	global_store_b64 v[1:2], v[18:19], off
	global_wb scope:SCOPE_SYS
	s_wait_storecnt 0x0
	global_atomic_cmpswap_b64 v[16:17], v11, v[16:19], s[2:3] offset:24 th:TH_ATOMIC_RETURN scope:SCOPE_SYS
	s_wait_loadcnt 0x0
	v_cmp_ne_u64_e32 vcc_lo, v[16:17], v[18:19]
	s_and_b32 exec_lo, exec_lo, vcc_lo
	s_cbranch_execz .LBB6_1131
; %bb.1212:                             ;   in Loop: Header=BB6_1132 Depth=1
	s_mov_b32 s1, 0
.LBB6_1213:                             ;   Parent Loop BB6_1132 Depth=1
                                        ; =>  This Inner Loop Header: Depth=2
	v_dual_mov_b32 v14, s10 :: v_dual_mov_b32 v15, s11
	s_sleep 1
	global_store_b64 v[1:2], v[16:17], off
	global_wb scope:SCOPE_SYS
	s_wait_storecnt 0x0
	global_atomic_cmpswap_b64 v[8:9], v11, v[14:17], s[2:3] offset:24 th:TH_ATOMIC_RETURN scope:SCOPE_SYS
	s_wait_loadcnt 0x0
	v_cmp_eq_u64_e32 vcc_lo, v[8:9], v[16:17]
	v_dual_mov_b32 v17, v9 :: v_dual_mov_b32 v16, v8
	s_wait_alu 0xfffe
	s_or_b32 s1, vcc_lo, s1
	s_wait_alu 0xfffe
	s_and_not1_b32 exec_lo, exec_lo, s1
	s_cbranch_execnz .LBB6_1213
	s_branch .LBB6_1131
.LBB6_1214:
	s_mov_b32 s1, 0
	s_branch .LBB6_1216
.LBB6_1215:
	s_mov_b32 s1, -1
                                        ; implicit-def: $vgpr6_vgpr7
.LBB6_1216:
	s_wait_alu 0xfffe
	s_and_b32 vcc_lo, exec_lo, s1
	s_wait_alu 0xfffe
	s_cbranch_vccz .LBB6_1243
; %bb.1217:
	v_readfirstlane_b32 s1, v35
	v_mov_b32_e32 v1, 0
	v_mov_b32_e32 v2, 0
	s_wait_alu 0xf1ff
	s_delay_alu instid0(VALU_DEP_3)
	v_cmp_eq_u32_e64 s1, s1, v35
	s_and_saveexec_b32 s4, s1
	s_cbranch_execz .LBB6_1223
; %bb.1218:
	s_wait_loadcnt 0x0
	v_mov_b32_e32 v6, 0
	s_mov_b32 s5, exec_lo
	global_load_b64 v[9:10], v6, s[2:3] offset:24 scope:SCOPE_SYS
	s_wait_loadcnt 0x0
	global_inv scope:SCOPE_SYS
	s_clause 0x1
	global_load_b64 v[1:2], v6, s[2:3] offset:40
	global_load_b64 v[7:8], v6, s[2:3]
	s_wait_loadcnt 0x1
	v_and_b32_e32 v2, v2, v10
	v_and_b32_e32 v1, v1, v9
	s_delay_alu instid0(VALU_DEP_2) | instskip(NEXT) | instid1(VALU_DEP_2)
	v_mul_lo_u32 v2, 24, v2
	v_mul_lo_u32 v11, 0, v1
	v_mul_hi_u32 v12, 24, v1
	v_mul_lo_u32 v1, 24, v1
	s_delay_alu instid0(VALU_DEP_3) | instskip(SKIP_1) | instid1(VALU_DEP_2)
	v_add_nc_u32_e32 v2, v2, v11
	s_wait_loadcnt 0x0
	v_add_co_u32 v1, vcc_lo, v7, v1
	s_delay_alu instid0(VALU_DEP_2) | instskip(SKIP_1) | instid1(VALU_DEP_1)
	v_add_nc_u32_e32 v2, v2, v12
	s_wait_alu 0xfffd
	v_add_co_ci_u32_e64 v2, null, v8, v2, vcc_lo
	global_load_b64 v[7:8], v[1:2], off scope:SCOPE_SYS
	s_wait_loadcnt 0x0
	global_atomic_cmpswap_b64 v[1:2], v6, v[7:10], s[2:3] offset:24 th:TH_ATOMIC_RETURN scope:SCOPE_SYS
	s_wait_loadcnt 0x0
	global_inv scope:SCOPE_SYS
	v_cmpx_ne_u64_e64 v[1:2], v[9:10]
	s_cbranch_execz .LBB6_1222
; %bb.1219:
	s_mov_b32 s6, 0
.LBB6_1220:                             ; =>This Inner Loop Header: Depth=1
	s_sleep 1
	s_clause 0x1
	global_load_b64 v[7:8], v6, s[2:3] offset:40
	global_load_b64 v[11:12], v6, s[2:3]
	v_dual_mov_b32 v10, v2 :: v_dual_mov_b32 v9, v1
	s_wait_loadcnt 0x1
	s_delay_alu instid0(VALU_DEP_1) | instskip(NEXT) | instid1(VALU_DEP_2)
	v_and_b32_e32 v1, v7, v9
	v_and_b32_e32 v7, v8, v10
	s_wait_loadcnt 0x0
	s_delay_alu instid0(VALU_DEP_2) | instskip(NEXT) | instid1(VALU_DEP_1)
	v_mad_co_u64_u32 v[1:2], null, v1, 24, v[11:12]
	v_mad_co_u64_u32 v[7:8], null, v7, 24, v[2:3]
	s_delay_alu instid0(VALU_DEP_1)
	v_mov_b32_e32 v2, v7
	global_load_b64 v[7:8], v[1:2], off scope:SCOPE_SYS
	s_wait_loadcnt 0x0
	global_atomic_cmpswap_b64 v[1:2], v6, v[7:10], s[2:3] offset:24 th:TH_ATOMIC_RETURN scope:SCOPE_SYS
	s_wait_loadcnt 0x0
	global_inv scope:SCOPE_SYS
	v_cmp_eq_u64_e32 vcc_lo, v[1:2], v[9:10]
	s_wait_alu 0xfffe
	s_or_b32 s6, vcc_lo, s6
	s_wait_alu 0xfffe
	s_and_not1_b32 exec_lo, exec_lo, s6
	s_cbranch_execnz .LBB6_1220
; %bb.1221:
	s_or_b32 exec_lo, exec_lo, s6
.LBB6_1222:
	s_wait_alu 0xfffe
	s_or_b32 exec_lo, exec_lo, s5
.LBB6_1223:
	s_wait_alu 0xfffe
	s_or_b32 exec_lo, exec_lo, s4
	v_readfirstlane_b32 s5, v2
	s_wait_loadcnt 0x0
	v_mov_b32_e32 v6, 0
	v_readfirstlane_b32 s4, v1
	s_mov_b32 s6, exec_lo
	s_clause 0x1
	global_load_b64 v[12:13], v6, s[2:3] offset:40
	global_load_b128 v[8:11], v6, s[2:3]
	s_wait_loadcnt 0x1
	s_wait_alu 0xf1ff
	v_and_b32_e32 v13, s5, v13
	v_and_b32_e32 v12, s4, v12
	s_delay_alu instid0(VALU_DEP_2) | instskip(NEXT) | instid1(VALU_DEP_2)
	v_mul_lo_u32 v1, 24, v13
	v_mul_lo_u32 v2, 0, v12
	v_mul_hi_u32 v7, 24, v12
	v_mul_lo_u32 v14, 24, v12
	s_delay_alu instid0(VALU_DEP_3) | instskip(NEXT) | instid1(VALU_DEP_1)
	v_add_nc_u32_e32 v1, v1, v2
	v_add_nc_u32_e32 v2, v1, v7
	s_wait_loadcnt 0x0
	s_delay_alu instid0(VALU_DEP_3) | instskip(SKIP_1) | instid1(VALU_DEP_2)
	v_add_co_u32 v1, vcc_lo, v8, v14
	s_wait_alu 0xfffd
	v_add_co_ci_u32_e64 v2, null, v9, v2, vcc_lo
	s_and_saveexec_b32 s7, s1
	s_cbranch_execz .LBB6_1225
; %bb.1224:
	s_wait_alu 0xfffe
	v_dual_mov_b32 v14, s6 :: v_dual_mov_b32 v15, v6
	v_dual_mov_b32 v16, 2 :: v_dual_mov_b32 v17, 1
	global_store_b128 v[1:2], v[14:17], off offset:8
.LBB6_1225:
	s_wait_alu 0xfffe
	s_or_b32 exec_lo, exec_lo, s7
	v_lshlrev_b64_e32 v[12:13], 12, v[12:13]
	s_mov_b32 s8, 0
	v_and_or_b32 v4, 0xffffff1f, v4, 32
	s_wait_alu 0xfffe
	s_mov_b32 s11, s8
	s_mov_b32 s9, s8
	;; [unrolled: 1-line block ×3, first 2 shown]
	v_add_co_u32 v10, vcc_lo, v10, v12
	s_wait_alu 0xfffd
	v_add_co_ci_u32_e64 v11, null, v11, v13, vcc_lo
	v_mov_b32_e32 v7, v6
	s_delay_alu instid0(VALU_DEP_3) | instskip(SKIP_1) | instid1(VALU_DEP_4)
	v_readfirstlane_b32 s6, v10
	v_add_co_u32 v10, vcc_lo, v10, v34
	v_readfirstlane_b32 s7, v11
	s_wait_alu 0xfffe
	v_dual_mov_b32 v15, s11 :: v_dual_mov_b32 v12, s8
	s_wait_alu 0xfffd
	v_add_co_ci_u32_e64 v11, null, 0, v11, vcc_lo
	v_dual_mov_b32 v14, s10 :: v_dual_mov_b32 v13, s9
	s_clause 0x3
	global_store_b128 v34, v[4:7], s[6:7]
	global_store_b128 v34, v[12:15], s[6:7] offset:16
	global_store_b128 v34, v[12:15], s[6:7] offset:32
	global_store_b128 v34, v[12:15], s[6:7] offset:48
	s_and_saveexec_b32 s6, s1
	s_cbranch_execz .LBB6_1232
; %bb.1226:
	v_mov_b32_e32 v12, 0
	s_mov_b32 s7, exec_lo
	s_clause 0x1
	global_load_b64 v[15:16], v12, s[2:3] offset:32 scope:SCOPE_SYS
	global_load_b64 v[4:5], v12, s[2:3] offset:40
	v_dual_mov_b32 v13, s4 :: v_dual_mov_b32 v14, s5
	s_wait_loadcnt 0x0
	v_and_b32_e32 v5, s5, v5
	v_and_b32_e32 v4, s4, v4
	s_delay_alu instid0(VALU_DEP_2) | instskip(NEXT) | instid1(VALU_DEP_2)
	v_mul_lo_u32 v5, 24, v5
	v_mul_lo_u32 v6, 0, v4
	v_mul_hi_u32 v7, 24, v4
	v_mul_lo_u32 v4, 24, v4
	s_delay_alu instid0(VALU_DEP_3) | instskip(NEXT) | instid1(VALU_DEP_2)
	v_add_nc_u32_e32 v5, v5, v6
	v_add_co_u32 v8, vcc_lo, v8, v4
	s_delay_alu instid0(VALU_DEP_2) | instskip(SKIP_1) | instid1(VALU_DEP_1)
	v_add_nc_u32_e32 v5, v5, v7
	s_wait_alu 0xfffd
	v_add_co_ci_u32_e64 v9, null, v9, v5, vcc_lo
	global_store_b64 v[8:9], v[15:16], off
	global_wb scope:SCOPE_SYS
	s_wait_storecnt 0x0
	global_atomic_cmpswap_b64 v[6:7], v12, v[13:16], s[2:3] offset:32 th:TH_ATOMIC_RETURN scope:SCOPE_SYS
	s_wait_loadcnt 0x0
	v_cmpx_ne_u64_e64 v[6:7], v[15:16]
	s_cbranch_execz .LBB6_1228
.LBB6_1227:                             ; =>This Inner Loop Header: Depth=1
	v_dual_mov_b32 v4, s4 :: v_dual_mov_b32 v5, s5
	s_sleep 1
	global_store_b64 v[8:9], v[6:7], off
	global_wb scope:SCOPE_SYS
	s_wait_storecnt 0x0
	global_atomic_cmpswap_b64 v[4:5], v12, v[4:7], s[2:3] offset:32 th:TH_ATOMIC_RETURN scope:SCOPE_SYS
	s_wait_loadcnt 0x0
	v_cmp_eq_u64_e32 vcc_lo, v[4:5], v[6:7]
	v_dual_mov_b32 v7, v5 :: v_dual_mov_b32 v6, v4
	s_or_b32 s8, vcc_lo, s8
	s_wait_alu 0xfffe
	s_and_not1_b32 exec_lo, exec_lo, s8
	s_cbranch_execnz .LBB6_1227
.LBB6_1228:
	s_wait_alu 0xfffe
	s_or_b32 exec_lo, exec_lo, s7
	v_mov_b32_e32 v7, 0
	s_mov_b32 s8, exec_lo
	s_mov_b32 s7, exec_lo
	s_wait_alu 0xfffe
	v_mbcnt_lo_u32_b32 v6, s8, 0
	global_load_b64 v[4:5], v7, s[2:3] offset:16
	v_cmpx_eq_u32_e32 0, v6
	s_cbranch_execz .LBB6_1230
; %bb.1229:
	s_bcnt1_i32_b32 s8, s8
	s_wait_alu 0xfffe
	v_mov_b32_e32 v6, s8
	global_wb scope:SCOPE_SYS
	s_wait_loadcnt 0x0
	s_wait_storecnt 0x0
	global_atomic_add_u64 v[4:5], v[6:7], off offset:8 scope:SCOPE_SYS
.LBB6_1230:
	s_or_b32 exec_lo, exec_lo, s7
	s_wait_loadcnt 0x0
	global_load_b64 v[6:7], v[4:5], off offset:16
	s_wait_loadcnt 0x0
	v_cmp_eq_u64_e32 vcc_lo, 0, v[6:7]
	s_cbranch_vccnz .LBB6_1232
; %bb.1231:
	global_load_b32 v4, v[4:5], off offset:24
	v_mov_b32_e32 v5, 0
	s_wait_loadcnt 0x0
	v_readfirstlane_b32 s7, v4
	global_wb scope:SCOPE_SYS
	s_wait_storecnt 0x0
	global_store_b64 v[6:7], v[4:5], off scope:SCOPE_SYS
	s_and_b32 m0, s7, 0xffffff
	s_sendmsg sendmsg(MSG_INTERRUPT)
.LBB6_1232:
	s_wait_alu 0xfffe
	s_or_b32 exec_lo, exec_lo, s6
	s_branch .LBB6_1236
.LBB6_1233:                             ;   in Loop: Header=BB6_1236 Depth=1
	s_wait_alu 0xfffe
	s_or_b32 exec_lo, exec_lo, s6
	s_delay_alu instid0(VALU_DEP_1)
	v_readfirstlane_b32 s6, v4
	s_cmp_eq_u32 s6, 0
	s_cbranch_scc1 .LBB6_1235
; %bb.1234:                             ;   in Loop: Header=BB6_1236 Depth=1
	s_sleep 1
	s_cbranch_execnz .LBB6_1236
	s_branch .LBB6_1238
.LBB6_1235:
	s_branch .LBB6_1238
.LBB6_1236:                             ; =>This Inner Loop Header: Depth=1
	v_mov_b32_e32 v4, 1
	s_and_saveexec_b32 s6, s1
	s_cbranch_execz .LBB6_1233
; %bb.1237:                             ;   in Loop: Header=BB6_1236 Depth=1
	global_load_b32 v4, v[1:2], off offset:20 scope:SCOPE_SYS
	s_wait_loadcnt 0x0
	global_inv scope:SCOPE_SYS
	v_and_b32_e32 v4, 1, v4
	s_branch .LBB6_1233
.LBB6_1238:
	global_load_b64 v[6:7], v[10:11], off
	s_and_saveexec_b32 s6, s1
	s_cbranch_execz .LBB6_1242
; %bb.1239:
	v_mov_b32_e32 v4, 0
	s_clause 0x2
	global_load_b64 v[1:2], v4, s[2:3] offset:40
	global_load_b64 v[12:13], v4, s[2:3] offset:24 scope:SCOPE_SYS
	global_load_b64 v[8:9], v4, s[2:3]
	s_wait_loadcnt 0x2
	v_readfirstlane_b32 s8, v1
	v_readfirstlane_b32 s9, v2
	s_add_nc_u64 s[10:11], s[8:9], 1
	s_wait_alu 0xfffe
	s_add_nc_u64 s[4:5], s[10:11], s[4:5]
	s_wait_alu 0xfffe
	s_cmp_eq_u64 s[4:5], 0
	s_cselect_b32 s5, s11, s5
	s_cselect_b32 s4, s10, s4
	s_wait_alu 0xfffe
	v_mov_b32_e32 v11, s5
	s_and_b64 s[8:9], s[4:5], s[8:9]
	v_mov_b32_e32 v10, s4
	s_wait_alu 0xfffe
	s_mul_u64 s[8:9], s[8:9], 24
	s_wait_loadcnt 0x0
	s_wait_alu 0xfffe
	v_add_co_u32 v1, vcc_lo, v8, s8
	s_wait_alu 0xfffd
	v_add_co_ci_u32_e64 v2, null, s9, v9, vcc_lo
	global_store_b64 v[1:2], v[12:13], off
	global_wb scope:SCOPE_SYS
	s_wait_storecnt 0x0
	global_atomic_cmpswap_b64 v[10:11], v4, v[10:13], s[2:3] offset:24 th:TH_ATOMIC_RETURN scope:SCOPE_SYS
	s_wait_loadcnt 0x0
	v_cmp_ne_u64_e32 vcc_lo, v[10:11], v[12:13]
	s_and_b32 exec_lo, exec_lo, vcc_lo
	s_cbranch_execz .LBB6_1242
; %bb.1240:
	s_mov_b32 s1, 0
.LBB6_1241:                             ; =>This Inner Loop Header: Depth=1
	v_dual_mov_b32 v8, s4 :: v_dual_mov_b32 v9, s5
	s_sleep 1
	global_store_b64 v[1:2], v[10:11], off
	global_wb scope:SCOPE_SYS
	s_wait_storecnt 0x0
	global_atomic_cmpswap_b64 v[8:9], v4, v[8:11], s[2:3] offset:24 th:TH_ATOMIC_RETURN scope:SCOPE_SYS
	s_wait_loadcnt 0x0
	v_cmp_eq_u64_e32 vcc_lo, v[8:9], v[10:11]
	v_dual_mov_b32 v11, v9 :: v_dual_mov_b32 v10, v8
	s_wait_alu 0xfffe
	s_or_b32 s1, vcc_lo, s1
	s_wait_alu 0xfffe
	s_and_not1_b32 exec_lo, exec_lo, s1
	s_cbranch_execnz .LBB6_1241
.LBB6_1242:
	s_wait_alu 0xfffe
	s_or_b32 exec_lo, exec_lo, s6
.LBB6_1243:
	v_readfirstlane_b32 s1, v35
	v_mov_b32_e32 v1, 0
	v_mov_b32_e32 v2, 0
	s_wait_alu 0xf1ff
	s_delay_alu instid0(VALU_DEP_3)
	v_cmp_eq_u32_e64 s1, s1, v35
	s_and_saveexec_b32 s4, s1
	s_cbranch_execz .LBB6_1249
; %bb.1244:
	s_wait_loadcnt 0x0
	v_mov_b32_e32 v4, 0
	s_mov_b32 s5, exec_lo
	global_load_b64 v[10:11], v4, s[2:3] offset:24 scope:SCOPE_SYS
	s_wait_loadcnt 0x0
	global_inv scope:SCOPE_SYS
	s_clause 0x1
	global_load_b64 v[1:2], v4, s[2:3] offset:40
	global_load_b64 v[8:9], v4, s[2:3]
	s_wait_loadcnt 0x1
	v_and_b32_e32 v2, v2, v11
	v_and_b32_e32 v1, v1, v10
	s_delay_alu instid0(VALU_DEP_2) | instskip(NEXT) | instid1(VALU_DEP_2)
	v_mul_lo_u32 v2, 24, v2
	v_mul_lo_u32 v5, 0, v1
	v_mul_hi_u32 v12, 24, v1
	v_mul_lo_u32 v1, 24, v1
	s_delay_alu instid0(VALU_DEP_3) | instskip(SKIP_1) | instid1(VALU_DEP_2)
	v_add_nc_u32_e32 v2, v2, v5
	s_wait_loadcnt 0x0
	v_add_co_u32 v1, vcc_lo, v8, v1
	s_delay_alu instid0(VALU_DEP_2) | instskip(SKIP_1) | instid1(VALU_DEP_1)
	v_add_nc_u32_e32 v2, v2, v12
	s_wait_alu 0xfffd
	v_add_co_ci_u32_e64 v2, null, v9, v2, vcc_lo
	global_load_b64 v[8:9], v[1:2], off scope:SCOPE_SYS
	s_wait_loadcnt 0x0
	global_atomic_cmpswap_b64 v[1:2], v4, v[8:11], s[2:3] offset:24 th:TH_ATOMIC_RETURN scope:SCOPE_SYS
	s_wait_loadcnt 0x0
	global_inv scope:SCOPE_SYS
	v_cmpx_ne_u64_e64 v[1:2], v[10:11]
	s_cbranch_execz .LBB6_1248
; %bb.1245:
	s_mov_b32 s6, 0
.LBB6_1246:                             ; =>This Inner Loop Header: Depth=1
	s_sleep 1
	s_clause 0x1
	global_load_b64 v[8:9], v4, s[2:3] offset:40
	global_load_b64 v[12:13], v4, s[2:3]
	v_dual_mov_b32 v11, v2 :: v_dual_mov_b32 v10, v1
	s_wait_loadcnt 0x1
	s_delay_alu instid0(VALU_DEP_1) | instskip(NEXT) | instid1(VALU_DEP_2)
	v_and_b32_e32 v1, v8, v10
	v_and_b32_e32 v5, v9, v11
	s_wait_loadcnt 0x0
	s_delay_alu instid0(VALU_DEP_2) | instskip(NEXT) | instid1(VALU_DEP_1)
	v_mad_co_u64_u32 v[1:2], null, v1, 24, v[12:13]
	v_mad_co_u64_u32 v[8:9], null, v5, 24, v[2:3]
	s_delay_alu instid0(VALU_DEP_1)
	v_mov_b32_e32 v2, v8
	global_load_b64 v[8:9], v[1:2], off scope:SCOPE_SYS
	s_wait_loadcnt 0x0
	global_atomic_cmpswap_b64 v[1:2], v4, v[8:11], s[2:3] offset:24 th:TH_ATOMIC_RETURN scope:SCOPE_SYS
	s_wait_loadcnt 0x0
	global_inv scope:SCOPE_SYS
	v_cmp_eq_u64_e32 vcc_lo, v[1:2], v[10:11]
	s_wait_alu 0xfffe
	s_or_b32 s6, vcc_lo, s6
	s_wait_alu 0xfffe
	s_and_not1_b32 exec_lo, exec_lo, s6
	s_cbranch_execnz .LBB6_1246
; %bb.1247:
	s_or_b32 exec_lo, exec_lo, s6
.LBB6_1248:
	s_wait_alu 0xfffe
	s_or_b32 exec_lo, exec_lo, s5
.LBB6_1249:
	s_wait_alu 0xfffe
	s_or_b32 exec_lo, exec_lo, s4
	v_readfirstlane_b32 s4, v1
	v_mov_b32_e32 v9, 0
	v_readfirstlane_b32 s5, v2
	s_mov_b32 s6, exec_lo
	s_wait_loadcnt 0x0
	s_clause 0x1
	global_load_b64 v[4:5], v9, s[2:3] offset:40
	global_load_b128 v[10:13], v9, s[2:3]
	s_wait_loadcnt 0x1
	s_wait_alu 0xf1ff
	v_and_b32_e32 v5, s5, v5
	v_and_b32_e32 v4, s4, v4
	s_delay_alu instid0(VALU_DEP_2) | instskip(NEXT) | instid1(VALU_DEP_2)
	v_mul_lo_u32 v1, 24, v5
	v_mul_lo_u32 v2, 0, v4
	v_mul_hi_u32 v8, 24, v4
	v_mul_lo_u32 v14, 24, v4
	s_delay_alu instid0(VALU_DEP_3) | instskip(NEXT) | instid1(VALU_DEP_1)
	v_add_nc_u32_e32 v1, v1, v2
	v_add_nc_u32_e32 v2, v1, v8
	s_wait_loadcnt 0x0
	s_delay_alu instid0(VALU_DEP_3) | instskip(SKIP_1) | instid1(VALU_DEP_2)
	v_add_co_u32 v1, vcc_lo, v10, v14
	s_wait_alu 0xfffd
	v_add_co_ci_u32_e64 v2, null, v11, v2, vcc_lo
	s_and_saveexec_b32 s7, s1
	s_cbranch_execz .LBB6_1251
; %bb.1250:
	s_wait_alu 0xfffe
	v_dual_mov_b32 v8, s6 :: v_dual_mov_b32 v17, 1
	v_dual_mov_b32 v16, 2 :: v_dual_mov_b32 v15, v9
	s_delay_alu instid0(VALU_DEP_2)
	v_mov_b32_e32 v14, v8
	global_store_b128 v[1:2], v[14:17], off offset:8
.LBB6_1251:
	s_wait_alu 0xfffe
	s_or_b32 exec_lo, exec_lo, s7
	v_lshlrev_b64_e32 v[4:5], 12, v[4:5]
	s_mov_b32 s8, 0
	v_and_or_b32 v6, 0xffffff1f, v6, 32
	s_wait_alu 0xfffe
	s_mov_b32 s11, s8
	s_mov_b32 s9, s8
	;; [unrolled: 1-line block ×3, first 2 shown]
	v_add_co_u32 v4, vcc_lo, v12, v4
	s_wait_alu 0xfffd
	v_add_co_ci_u32_e64 v5, null, v13, v5, vcc_lo
	s_wait_alu 0xfffe
	v_dual_mov_b32 v8, v36 :: v_dual_mov_b32 v17, s11
	v_add_co_u32 v12, vcc_lo, v4, v34
	v_readfirstlane_b32 s6, v4
	v_readfirstlane_b32 s7, v5
	s_wait_alu 0xfffd
	v_add_co_ci_u32_e64 v13, null, 0, v5, vcc_lo
	v_dual_mov_b32 v16, s10 :: v_dual_mov_b32 v15, s9
	v_mov_b32_e32 v14, s8
	s_clause 0x3
	global_store_b128 v34, v[6:9], s[6:7]
	global_store_b128 v34, v[14:17], s[6:7] offset:16
	global_store_b128 v34, v[14:17], s[6:7] offset:32
	;; [unrolled: 1-line block ×3, first 2 shown]
	s_and_saveexec_b32 s6, s1
	s_cbranch_execz .LBB6_1258
; %bb.1252:
	v_mov_b32_e32 v14, 0
	s_mov_b32 s7, exec_lo
	s_clause 0x1
	global_load_b64 v[17:18], v14, s[2:3] offset:32 scope:SCOPE_SYS
	global_load_b64 v[4:5], v14, s[2:3] offset:40
	v_dual_mov_b32 v15, s4 :: v_dual_mov_b32 v16, s5
	s_wait_loadcnt 0x0
	v_and_b32_e32 v5, s5, v5
	v_and_b32_e32 v4, s4, v4
	s_delay_alu instid0(VALU_DEP_2) | instskip(NEXT) | instid1(VALU_DEP_2)
	v_mul_lo_u32 v5, 24, v5
	v_mul_lo_u32 v6, 0, v4
	v_mul_hi_u32 v7, 24, v4
	v_mul_lo_u32 v4, 24, v4
	s_delay_alu instid0(VALU_DEP_3) | instskip(NEXT) | instid1(VALU_DEP_2)
	v_add_nc_u32_e32 v5, v5, v6
	v_add_co_u32 v8, vcc_lo, v10, v4
	s_delay_alu instid0(VALU_DEP_2) | instskip(SKIP_1) | instid1(VALU_DEP_1)
	v_add_nc_u32_e32 v5, v5, v7
	s_wait_alu 0xfffd
	v_add_co_ci_u32_e64 v9, null, v11, v5, vcc_lo
	global_store_b64 v[8:9], v[17:18], off
	global_wb scope:SCOPE_SYS
	s_wait_storecnt 0x0
	global_atomic_cmpswap_b64 v[6:7], v14, v[15:18], s[2:3] offset:32 th:TH_ATOMIC_RETURN scope:SCOPE_SYS
	s_wait_loadcnt 0x0
	v_cmpx_ne_u64_e64 v[6:7], v[17:18]
	s_cbranch_execz .LBB6_1254
.LBB6_1253:                             ; =>This Inner Loop Header: Depth=1
	v_dual_mov_b32 v4, s4 :: v_dual_mov_b32 v5, s5
	s_sleep 1
	global_store_b64 v[8:9], v[6:7], off
	global_wb scope:SCOPE_SYS
	s_wait_storecnt 0x0
	global_atomic_cmpswap_b64 v[4:5], v14, v[4:7], s[2:3] offset:32 th:TH_ATOMIC_RETURN scope:SCOPE_SYS
	s_wait_loadcnt 0x0
	v_cmp_eq_u64_e32 vcc_lo, v[4:5], v[6:7]
	v_dual_mov_b32 v7, v5 :: v_dual_mov_b32 v6, v4
	s_or_b32 s8, vcc_lo, s8
	s_wait_alu 0xfffe
	s_and_not1_b32 exec_lo, exec_lo, s8
	s_cbranch_execnz .LBB6_1253
.LBB6_1254:
	s_wait_alu 0xfffe
	s_or_b32 exec_lo, exec_lo, s7
	v_mov_b32_e32 v7, 0
	s_mov_b32 s8, exec_lo
	s_mov_b32 s7, exec_lo
	s_wait_alu 0xfffe
	v_mbcnt_lo_u32_b32 v6, s8, 0
	global_load_b64 v[4:5], v7, s[2:3] offset:16
	v_cmpx_eq_u32_e32 0, v6
	s_cbranch_execz .LBB6_1256
; %bb.1255:
	s_bcnt1_i32_b32 s8, s8
	s_wait_alu 0xfffe
	v_mov_b32_e32 v6, s8
	global_wb scope:SCOPE_SYS
	s_wait_loadcnt 0x0
	s_wait_storecnt 0x0
	global_atomic_add_u64 v[4:5], v[6:7], off offset:8 scope:SCOPE_SYS
.LBB6_1256:
	s_or_b32 exec_lo, exec_lo, s7
	s_wait_loadcnt 0x0
	global_load_b64 v[6:7], v[4:5], off offset:16
	s_wait_loadcnt 0x0
	v_cmp_eq_u64_e32 vcc_lo, 0, v[6:7]
	s_cbranch_vccnz .LBB6_1258
; %bb.1257:
	global_load_b32 v4, v[4:5], off offset:24
	v_mov_b32_e32 v5, 0
	s_wait_loadcnt 0x0
	v_readfirstlane_b32 s7, v4
	global_wb scope:SCOPE_SYS
	s_wait_storecnt 0x0
	global_store_b64 v[6:7], v[4:5], off scope:SCOPE_SYS
	s_and_b32 m0, s7, 0xffffff
	s_sendmsg sendmsg(MSG_INTERRUPT)
.LBB6_1258:
	s_wait_alu 0xfffe
	s_or_b32 exec_lo, exec_lo, s6
	s_branch .LBB6_1262
.LBB6_1259:                             ;   in Loop: Header=BB6_1262 Depth=1
	s_wait_alu 0xfffe
	s_or_b32 exec_lo, exec_lo, s6
	s_delay_alu instid0(VALU_DEP_1)
	v_readfirstlane_b32 s6, v4
	s_cmp_eq_u32 s6, 0
	s_cbranch_scc1 .LBB6_1261
; %bb.1260:                             ;   in Loop: Header=BB6_1262 Depth=1
	s_sleep 1
	s_cbranch_execnz .LBB6_1262
	s_branch .LBB6_1264
.LBB6_1261:
	s_branch .LBB6_1264
.LBB6_1262:                             ; =>This Inner Loop Header: Depth=1
	v_mov_b32_e32 v4, 1
	s_and_saveexec_b32 s6, s1
	s_cbranch_execz .LBB6_1259
; %bb.1263:                             ;   in Loop: Header=BB6_1262 Depth=1
	global_load_b32 v4, v[1:2], off offset:20 scope:SCOPE_SYS
	s_wait_loadcnt 0x0
	global_inv scope:SCOPE_SYS
	v_and_b32_e32 v4, 1, v4
	s_branch .LBB6_1259
.LBB6_1264:
	global_load_b64 v[1:2], v[12:13], off
	s_and_saveexec_b32 s6, s1
	s_cbranch_execz .LBB6_1268
; %bb.1265:
	v_mov_b32_e32 v10, 0
	s_clause 0x2
	global_load_b64 v[4:5], v10, s[2:3] offset:40
	global_load_b64 v[13:14], v10, s[2:3] offset:24 scope:SCOPE_SYS
	global_load_b64 v[6:7], v10, s[2:3]
	s_wait_loadcnt 0x2
	v_readfirstlane_b32 s8, v4
	v_readfirstlane_b32 s9, v5
	s_add_nc_u64 s[10:11], s[8:9], 1
	s_wait_alu 0xfffe
	s_add_nc_u64 s[4:5], s[10:11], s[4:5]
	s_wait_alu 0xfffe
	s_cmp_eq_u64 s[4:5], 0
	s_cselect_b32 s5, s11, s5
	s_cselect_b32 s4, s10, s4
	s_wait_alu 0xfffe
	v_mov_b32_e32 v12, s5
	s_and_b64 s[8:9], s[4:5], s[8:9]
	v_mov_b32_e32 v11, s4
	s_wait_alu 0xfffe
	s_mul_u64 s[8:9], s[8:9], 24
	s_wait_loadcnt 0x0
	s_wait_alu 0xfffe
	v_add_co_u32 v8, vcc_lo, v6, s8
	s_wait_alu 0xfffd
	v_add_co_ci_u32_e64 v9, null, s9, v7, vcc_lo
	global_store_b64 v[8:9], v[13:14], off
	global_wb scope:SCOPE_SYS
	s_wait_storecnt 0x0
	global_atomic_cmpswap_b64 v[6:7], v10, v[11:14], s[2:3] offset:24 th:TH_ATOMIC_RETURN scope:SCOPE_SYS
	s_wait_loadcnt 0x0
	v_cmp_ne_u64_e32 vcc_lo, v[6:7], v[13:14]
	s_and_b32 exec_lo, exec_lo, vcc_lo
	s_cbranch_execz .LBB6_1268
; %bb.1266:
	s_mov_b32 s1, 0
.LBB6_1267:                             ; =>This Inner Loop Header: Depth=1
	v_dual_mov_b32 v4, s4 :: v_dual_mov_b32 v5, s5
	s_sleep 1
	global_store_b64 v[8:9], v[6:7], off
	global_wb scope:SCOPE_SYS
	s_wait_storecnt 0x0
	global_atomic_cmpswap_b64 v[4:5], v10, v[4:7], s[2:3] offset:24 th:TH_ATOMIC_RETURN scope:SCOPE_SYS
	s_wait_loadcnt 0x0
	v_cmp_eq_u64_e32 vcc_lo, v[4:5], v[6:7]
	v_dual_mov_b32 v7, v5 :: v_dual_mov_b32 v6, v4
	s_wait_alu 0xfffe
	s_or_b32 s1, vcc_lo, s1
	s_wait_alu 0xfffe
	s_and_not1_b32 exec_lo, exec_lo, s1
	s_cbranch_execnz .LBB6_1267
.LBB6_1268:
	s_wait_alu 0xfffe
	s_or_b32 exec_lo, exec_lo, s6
	v_readfirstlane_b32 s1, v35
	v_mov_b32_e32 v9, 0
	v_mov_b32_e32 v10, 0
	s_wait_alu 0xf1ff
	s_delay_alu instid0(VALU_DEP_3)
	v_cmp_eq_u32_e64 s1, s1, v35
	s_and_saveexec_b32 s4, s1
	s_cbranch_execz .LBB6_1274
; %bb.1269:
	v_mov_b32_e32 v4, 0
	s_mov_b32 s5, exec_lo
	global_load_b64 v[7:8], v4, s[2:3] offset:24 scope:SCOPE_SYS
	s_wait_loadcnt 0x0
	global_inv scope:SCOPE_SYS
	s_clause 0x1
	global_load_b64 v[5:6], v4, s[2:3] offset:40
	global_load_b64 v[9:10], v4, s[2:3]
	s_wait_loadcnt 0x1
	v_and_b32_e32 v6, v6, v8
	v_and_b32_e32 v5, v5, v7
	s_delay_alu instid0(VALU_DEP_2) | instskip(NEXT) | instid1(VALU_DEP_2)
	v_mul_lo_u32 v6, 24, v6
	v_mul_lo_u32 v11, 0, v5
	v_mul_hi_u32 v12, 24, v5
	v_mul_lo_u32 v5, 24, v5
	s_delay_alu instid0(VALU_DEP_3) | instskip(SKIP_1) | instid1(VALU_DEP_2)
	v_add_nc_u32_e32 v6, v6, v11
	s_wait_loadcnt 0x0
	v_add_co_u32 v5, vcc_lo, v9, v5
	s_delay_alu instid0(VALU_DEP_2) | instskip(SKIP_1) | instid1(VALU_DEP_1)
	v_add_nc_u32_e32 v6, v6, v12
	s_wait_alu 0xfffd
	v_add_co_ci_u32_e64 v6, null, v10, v6, vcc_lo
	global_load_b64 v[5:6], v[5:6], off scope:SCOPE_SYS
	s_wait_loadcnt 0x0
	global_atomic_cmpswap_b64 v[9:10], v4, v[5:8], s[2:3] offset:24 th:TH_ATOMIC_RETURN scope:SCOPE_SYS
	s_wait_loadcnt 0x0
	global_inv scope:SCOPE_SYS
	v_cmpx_ne_u64_e64 v[9:10], v[7:8]
	s_cbranch_execz .LBB6_1273
; %bb.1270:
	s_mov_b32 s6, 0
.LBB6_1271:                             ; =>This Inner Loop Header: Depth=1
	s_sleep 1
	s_clause 0x1
	global_load_b64 v[5:6], v4, s[2:3] offset:40
	global_load_b64 v[11:12], v4, s[2:3]
	v_dual_mov_b32 v7, v9 :: v_dual_mov_b32 v8, v10
	s_wait_loadcnt 0x1
	s_delay_alu instid0(VALU_DEP_1) | instskip(NEXT) | instid1(VALU_DEP_2)
	v_and_b32_e32 v5, v5, v7
	v_and_b32_e32 v6, v6, v8
	s_wait_loadcnt 0x0
	s_delay_alu instid0(VALU_DEP_2) | instskip(NEXT) | instid1(VALU_DEP_1)
	v_mad_co_u64_u32 v[9:10], null, v5, 24, v[11:12]
	v_mov_b32_e32 v5, v10
	s_delay_alu instid0(VALU_DEP_1) | instskip(NEXT) | instid1(VALU_DEP_1)
	v_mad_co_u64_u32 v[5:6], null, v6, 24, v[5:6]
	v_mov_b32_e32 v10, v5
	global_load_b64 v[5:6], v[9:10], off scope:SCOPE_SYS
	s_wait_loadcnt 0x0
	global_atomic_cmpswap_b64 v[9:10], v4, v[5:8], s[2:3] offset:24 th:TH_ATOMIC_RETURN scope:SCOPE_SYS
	s_wait_loadcnt 0x0
	global_inv scope:SCOPE_SYS
	v_cmp_eq_u64_e32 vcc_lo, v[9:10], v[7:8]
	s_wait_alu 0xfffe
	s_or_b32 s6, vcc_lo, s6
	s_wait_alu 0xfffe
	s_and_not1_b32 exec_lo, exec_lo, s6
	s_cbranch_execnz .LBB6_1271
; %bb.1272:
	s_or_b32 exec_lo, exec_lo, s6
.LBB6_1273:
	s_wait_alu 0xfffe
	s_or_b32 exec_lo, exec_lo, s5
.LBB6_1274:
	s_wait_alu 0xfffe
	s_or_b32 exec_lo, exec_lo, s4
	v_readfirstlane_b32 s4, v9
	v_mov_b32_e32 v4, 0
	v_readfirstlane_b32 s5, v10
	s_mov_b32 s6, exec_lo
	s_clause 0x1
	global_load_b64 v[11:12], v4, s[2:3] offset:40
	global_load_b128 v[5:8], v4, s[2:3]
	s_wait_loadcnt 0x1
	s_wait_alu 0xf1ff
	v_and_b32_e32 v12, s5, v12
	v_and_b32_e32 v11, s4, v11
	s_delay_alu instid0(VALU_DEP_2) | instskip(NEXT) | instid1(VALU_DEP_2)
	v_mul_lo_u32 v9, 24, v12
	v_mul_lo_u32 v10, 0, v11
	v_mul_hi_u32 v13, 24, v11
	v_mul_lo_u32 v14, 24, v11
	s_delay_alu instid0(VALU_DEP_3) | instskip(NEXT) | instid1(VALU_DEP_1)
	v_add_nc_u32_e32 v9, v9, v10
	v_add_nc_u32_e32 v10, v9, v13
	s_wait_loadcnt 0x0
	s_delay_alu instid0(VALU_DEP_3) | instskip(SKIP_1) | instid1(VALU_DEP_2)
	v_add_co_u32 v9, vcc_lo, v5, v14
	s_wait_alu 0xfffd
	v_add_co_ci_u32_e64 v10, null, v6, v10, vcc_lo
	s_and_saveexec_b32 s7, s1
	s_cbranch_execz .LBB6_1276
; %bb.1275:
	s_wait_alu 0xfffe
	v_dual_mov_b32 v13, s6 :: v_dual_mov_b32 v14, v4
	v_dual_mov_b32 v15, 2 :: v_dual_mov_b32 v16, 1
	global_store_b128 v[9:10], v[13:16], off offset:8
.LBB6_1276:
	s_wait_alu 0xfffe
	s_or_b32 exec_lo, exec_lo, s7
	v_lshlrev_b64_e32 v[11:12], 12, v[11:12]
	s_mov_b32 s8, 0
	v_and_or_b32 v1, 0xffffff1d, v1, 34
	s_wait_alu 0xfffe
	s_mov_b32 s11, s8
	s_mov_b32 s9, s8
	;; [unrolled: 1-line block ×3, first 2 shown]
	v_add_co_u32 v7, vcc_lo, v7, v11
	s_wait_alu 0xfffd
	v_add_co_ci_u32_e64 v8, null, v8, v12, vcc_lo
	s_wait_alu 0xfffe
	v_dual_mov_b32 v14, s11 :: v_dual_mov_b32 v13, s10
	v_readfirstlane_b32 s6, v7
	s_delay_alu instid0(VALU_DEP_3)
	v_readfirstlane_b32 s7, v8
	v_dual_mov_b32 v12, s9 :: v_dual_mov_b32 v11, s8
	s_clause 0x3
	global_store_b128 v34, v[1:4], s[6:7]
	global_store_b128 v34, v[11:14], s[6:7] offset:16
	global_store_b128 v34, v[11:14], s[6:7] offset:32
	;; [unrolled: 1-line block ×3, first 2 shown]
	s_and_saveexec_b32 s6, s1
	s_cbranch_execz .LBB6_1283
; %bb.1277:
	v_mov_b32_e32 v7, 0
	s_mov_b32 s7, exec_lo
	s_clause 0x1
	global_load_b64 v[13:14], v7, s[2:3] offset:32 scope:SCOPE_SYS
	global_load_b64 v[1:2], v7, s[2:3] offset:40
	v_dual_mov_b32 v12, s5 :: v_dual_mov_b32 v11, s4
	s_wait_loadcnt 0x0
	v_and_b32_e32 v2, s5, v2
	v_and_b32_e32 v1, s4, v1
	s_delay_alu instid0(VALU_DEP_2) | instskip(NEXT) | instid1(VALU_DEP_2)
	v_mul_lo_u32 v2, 24, v2
	v_mul_lo_u32 v3, 0, v1
	v_mul_hi_u32 v4, 24, v1
	v_mul_lo_u32 v1, 24, v1
	s_delay_alu instid0(VALU_DEP_3) | instskip(NEXT) | instid1(VALU_DEP_2)
	v_add_nc_u32_e32 v2, v2, v3
	v_add_co_u32 v5, vcc_lo, v5, v1
	s_delay_alu instid0(VALU_DEP_2) | instskip(SKIP_1) | instid1(VALU_DEP_1)
	v_add_nc_u32_e32 v2, v2, v4
	s_wait_alu 0xfffd
	v_add_co_ci_u32_e64 v6, null, v6, v2, vcc_lo
	global_store_b64 v[5:6], v[13:14], off
	global_wb scope:SCOPE_SYS
	s_wait_storecnt 0x0
	global_atomic_cmpswap_b64 v[3:4], v7, v[11:14], s[2:3] offset:32 th:TH_ATOMIC_RETURN scope:SCOPE_SYS
	s_wait_loadcnt 0x0
	v_cmpx_ne_u64_e64 v[3:4], v[13:14]
	s_cbranch_execz .LBB6_1279
.LBB6_1278:                             ; =>This Inner Loop Header: Depth=1
	v_dual_mov_b32 v1, s4 :: v_dual_mov_b32 v2, s5
	s_sleep 1
	global_store_b64 v[5:6], v[3:4], off
	global_wb scope:SCOPE_SYS
	s_wait_storecnt 0x0
	global_atomic_cmpswap_b64 v[1:2], v7, v[1:4], s[2:3] offset:32 th:TH_ATOMIC_RETURN scope:SCOPE_SYS
	s_wait_loadcnt 0x0
	v_cmp_eq_u64_e32 vcc_lo, v[1:2], v[3:4]
	v_dual_mov_b32 v4, v2 :: v_dual_mov_b32 v3, v1
	s_or_b32 s8, vcc_lo, s8
	s_wait_alu 0xfffe
	s_and_not1_b32 exec_lo, exec_lo, s8
	s_cbranch_execnz .LBB6_1278
.LBB6_1279:
	s_wait_alu 0xfffe
	s_or_b32 exec_lo, exec_lo, s7
	v_mov_b32_e32 v4, 0
	s_mov_b32 s8, exec_lo
	s_mov_b32 s7, exec_lo
	s_wait_alu 0xfffe
	v_mbcnt_lo_u32_b32 v3, s8, 0
	global_load_b64 v[1:2], v4, s[2:3] offset:16
	v_cmpx_eq_u32_e32 0, v3
	s_cbranch_execz .LBB6_1281
; %bb.1280:
	s_bcnt1_i32_b32 s8, s8
	s_wait_alu 0xfffe
	v_mov_b32_e32 v3, s8
	global_wb scope:SCOPE_SYS
	s_wait_loadcnt 0x0
	s_wait_storecnt 0x0
	global_atomic_add_u64 v[1:2], v[3:4], off offset:8 scope:SCOPE_SYS
.LBB6_1281:
	s_or_b32 exec_lo, exec_lo, s7
	s_wait_loadcnt 0x0
	global_load_b64 v[3:4], v[1:2], off offset:16
	s_wait_loadcnt 0x0
	v_cmp_eq_u64_e32 vcc_lo, 0, v[3:4]
	s_cbranch_vccnz .LBB6_1283
; %bb.1282:
	global_load_b32 v1, v[1:2], off offset:24
	v_mov_b32_e32 v2, 0
	s_wait_loadcnt 0x0
	v_readfirstlane_b32 s7, v1
	global_wb scope:SCOPE_SYS
	s_wait_storecnt 0x0
	global_store_b64 v[3:4], v[1:2], off scope:SCOPE_SYS
	s_and_b32 m0, s7, 0xffffff
	s_sendmsg sendmsg(MSG_INTERRUPT)
.LBB6_1283:
	s_wait_alu 0xfffe
	s_or_b32 exec_lo, exec_lo, s6
	s_branch .LBB6_1287
.LBB6_1284:                             ;   in Loop: Header=BB6_1287 Depth=1
	s_wait_alu 0xfffe
	s_or_b32 exec_lo, exec_lo, s6
	s_delay_alu instid0(VALU_DEP_1)
	v_readfirstlane_b32 s6, v1
	s_cmp_eq_u32 s6, 0
	s_cbranch_scc1 .LBB6_1286
; %bb.1285:                             ;   in Loop: Header=BB6_1287 Depth=1
	s_sleep 1
	s_cbranch_execnz .LBB6_1287
	s_branch .LBB6_1289
.LBB6_1286:
	s_branch .LBB6_1289
.LBB6_1287:                             ; =>This Inner Loop Header: Depth=1
	v_mov_b32_e32 v1, 1
	s_and_saveexec_b32 s6, s1
	s_cbranch_execz .LBB6_1284
; %bb.1288:                             ;   in Loop: Header=BB6_1287 Depth=1
	global_load_b32 v1, v[9:10], off offset:20 scope:SCOPE_SYS
	s_wait_loadcnt 0x0
	global_inv scope:SCOPE_SYS
	v_and_b32_e32 v1, 1, v1
	s_branch .LBB6_1284
.LBB6_1289:
	s_and_b32 exec_lo, exec_lo, s1
	s_cbranch_execz .LBB6_1293
; %bb.1290:
	v_mov_b32_e32 v7, 0
	s_clause 0x2
	global_load_b64 v[1:2], v7, s[2:3] offset:40
	global_load_b64 v[10:11], v7, s[2:3] offset:24 scope:SCOPE_SYS
	global_load_b64 v[3:4], v7, s[2:3]
	s_wait_loadcnt 0x2
	v_readfirstlane_b32 s6, v1
	v_readfirstlane_b32 s7, v2
	s_add_nc_u64 s[8:9], s[6:7], 1
	s_wait_alu 0xfffe
	s_add_nc_u64 s[4:5], s[8:9], s[4:5]
	s_wait_alu 0xfffe
	s_cmp_eq_u64 s[4:5], 0
	s_cselect_b32 s5, s9, s5
	s_cselect_b32 s4, s8, s4
	s_wait_alu 0xfffe
	v_mov_b32_e32 v9, s5
	s_and_b64 s[6:7], s[4:5], s[6:7]
	v_mov_b32_e32 v8, s4
	s_wait_alu 0xfffe
	s_mul_u64 s[6:7], s[6:7], 24
	s_wait_loadcnt 0x0
	s_wait_alu 0xfffe
	v_add_co_u32 v5, vcc_lo, v3, s6
	s_wait_alu 0xfffd
	v_add_co_ci_u32_e64 v6, null, s7, v4, vcc_lo
	global_store_b64 v[5:6], v[10:11], off
	global_wb scope:SCOPE_SYS
	s_wait_storecnt 0x0
	global_atomic_cmpswap_b64 v[3:4], v7, v[8:11], s[2:3] offset:24 th:TH_ATOMIC_RETURN scope:SCOPE_SYS
	s_wait_loadcnt 0x0
	v_cmp_ne_u64_e32 vcc_lo, v[3:4], v[10:11]
	s_and_b32 exec_lo, exec_lo, vcc_lo
	s_cbranch_execz .LBB6_1293
; %bb.1291:
	s_mov_b32 s1, 0
.LBB6_1292:                             ; =>This Inner Loop Header: Depth=1
	v_dual_mov_b32 v1, s4 :: v_dual_mov_b32 v2, s5
	s_sleep 1
	global_store_b64 v[5:6], v[3:4], off
	global_wb scope:SCOPE_SYS
	s_wait_storecnt 0x0
	global_atomic_cmpswap_b64 v[1:2], v7, v[1:4], s[2:3] offset:24 th:TH_ATOMIC_RETURN scope:SCOPE_SYS
	s_wait_loadcnt 0x0
	v_cmp_eq_u64_e32 vcc_lo, v[1:2], v[3:4]
	v_dual_mov_b32 v4, v2 :: v_dual_mov_b32 v3, v1
	s_wait_alu 0xfffe
	s_or_b32 s1, vcc_lo, s1
	s_wait_alu 0xfffe
	s_and_not1_b32 exec_lo, exec_lo, s1
	s_cbranch_execnz .LBB6_1292
.LBB6_1293:
	s_wait_alu 0xfffe
	s_or_b32 exec_lo, exec_lo, s16
	v_or_b32_e32 v0, v0, v41
	s_xor_b32 s0, s0, -1
	s_mov_b32 s19, 0
                                        ; implicit-def: $vgpr41
	s_delay_alu instid0(VALU_DEP_1)
	v_cmp_lt_i32_e32 vcc_lo, -1, v0
	s_wait_alu 0xfffe
	s_and_b32 s0, vcc_lo, s0
	s_wait_alu 0xfffe
	s_and_saveexec_b32 s1, s0
	s_wait_alu 0xfffe
	s_xor_b32 s0, exec_lo, s1
	s_cbranch_execz .LBB6_1295
; %bb.1294:
	flat_load_b32 v0, v[42:43]
	v_lshl_or_b32 v29, v33, 1, 1
	s_mov_b32 s19, exec_lo
	s_wait_loadcnt_dscnt 0x0
	v_ashrrev_i32_e32 v1, 31, v0
	v_add_nc_u32_e32 v3, 1, v0
	v_lshl_or_b32 v41, v0, 1, 1
	s_delay_alu instid0(VALU_DEP_3) | instskip(NEXT) | instid1(VALU_DEP_1)
	v_lshlrev_b64_e32 v[1:2], 3, v[0:1]
	v_add_co_u32 v1, vcc_lo, v42, v1
	s_wait_alu 0xfffd
	s_delay_alu instid0(VALU_DEP_2)
	v_add_co_ci_u32_e64 v2, null, v43, v2, vcc_lo
	s_clause 0x1
	flat_store_b32 v[42:43], v3
	flat_store_b64 v[1:2], v[29:30] offset:8
.LBB6_1295:
	s_wait_alu 0xfffe
	s_or_saveexec_b32 s20, s0
	s_mov_b32 s0, s17
	s_wait_alu 0xfffe
	s_xor_b32 exec_lo, exec_lo, s20
	s_cbranch_execz .LBB6_1297
; %bb.1296:
	s_getpc_b64 s[0:1]
	s_wait_alu 0xfffe
	s_sext_i32_i16 s1, s1
	s_add_co_u32 s0, s0, .str.46@rel32@lo+12
	s_wait_alu 0xfffe
	s_add_co_ci_u32 s1, s1, .str.46@rel32@hi+24
	s_getpc_b64 s[2:3]
	s_wait_alu 0xfffe
	s_sext_i32_i16 s3, s3
	s_add_co_u32 s2, s2, .str.44@rel32@lo+12
	s_wait_alu 0xfffe
	s_add_co_ci_u32 s3, s3, .str.44@rel32@hi+24
	s_getpc_b64 s[4:5]
	s_wait_alu 0xfffe
	s_sext_i32_i16 s5, s5
	s_add_co_u32 s4, s4, __PRETTY_FUNCTION__._ZN8subgUtil18formAndNodeKeyFlagEiii@rel32@lo+12
	s_wait_alu 0xfffe
	s_add_co_ci_u32 s5, s5, __PRETTY_FUNCTION__._ZN8subgUtil18formAndNodeKeyFlagEiii@rel32@hi+24
	v_dual_mov_b32 v0, s0 :: v_dual_mov_b32 v1, s1
	v_dual_mov_b32 v2, s2 :: v_dual_mov_b32 v3, s3
	;; [unrolled: 1-line block ×3, first 2 shown]
	s_wait_alu 0xfffe
	v_mov_b32_e32 v6, s5
	s_getpc_b64 s[6:7]
	s_wait_alu 0xfffe
	s_sext_i32_i16 s7, s7
	s_add_co_u32 s6, s6, __assert_fail@rel32@lo+12
	s_wait_alu 0xfffe
	s_add_co_ci_u32 s7, s7, __assert_fail@rel32@hi+24
	s_mov_b64 s[8:9], s[52:53]
	s_wait_alu 0xfffe
	s_swappc_b64 s[30:31], s[6:7]
	s_or_b32 s0, s17, exec_lo
.LBB6_1297:
	s_or_b32 exec_lo, exec_lo, s20
	s_delay_alu instid0(SALU_CYCLE_1)
	s_and_not1_b32 s1, s17, exec_lo
	s_wait_alu 0xfffe
	s_and_b32 s0, s0, exec_lo
	s_wait_alu 0xfffe
	s_or_b32 s17, s1, s0
	s_and_b32 s0, s19, exec_lo
.LBB6_1298:
	s_or_b32 exec_lo, exec_lo, s18
	s_delay_alu instid0(SALU_CYCLE_1)
	s_and_not1_b32 s1, s34, exec_lo
	s_wait_alu 0xfffe
	s_and_b32 s2, s17, exec_lo
	s_or_not1_b32 s0, s0, exec_lo
	s_wait_alu 0xfffe
	s_or_b32 s1, s1, s2
.LBB6_1299:
	s_wait_alu 0xfffe
	s_or_b32 exec_lo, exec_lo, s37
	s_mov_b32 s2, 0
	s_and_saveexec_b32 s3, s0
	s_wait_alu 0xfffe
	s_xor_b32 s0, exec_lo, s3
; %bb.1300:
	s_mov_b32 s2, exec_lo
; %bb.1301:
	s_wait_alu 0xfffe
	s_or_b32 exec_lo, exec_lo, s0
	s_delay_alu instid0(SALU_CYCLE_1)
	s_and_not1_b32 s0, s34, exec_lo
	s_and_b32 s1, s1, exec_lo
	s_and_b32 s17, s2, exec_lo
	s_wait_alu 0xfffe
	s_or_b32 s18, s0, s1
.LBB6_1302:
	s_wait_alu 0xfffe
	s_and_not1_saveexec_b32 s19, s36
	s_cbranch_execz .LBB6_1304
; %bb.1303:
	s_getpc_b64 s[0:1]
	s_wait_alu 0xfffe
	s_sext_i32_i16 s1, s1
	s_add_co_u32 s0, s0, .str.46@rel32@lo+12
	s_wait_alu 0xfffe
	s_add_co_ci_u32 s1, s1, .str.46@rel32@hi+24
	s_getpc_b64 s[2:3]
	s_wait_alu 0xfffe
	s_sext_i32_i16 s3, s3
	s_add_co_u32 s2, s2, .str.44@rel32@lo+12
	s_wait_alu 0xfffe
	s_add_co_ci_u32 s3, s3, .str.44@rel32@hi+24
	s_getpc_b64 s[4:5]
	s_wait_alu 0xfffe
	s_sext_i32_i16 s5, s5
	s_add_co_u32 s4, s4, __PRETTY_FUNCTION__._ZN8subgUtil18formAndNodeKeyFlagEiii@rel32@lo+12
	s_wait_alu 0xfffe
	s_add_co_ci_u32 s5, s5, __PRETTY_FUNCTION__._ZN8subgUtil18formAndNodeKeyFlagEiii@rel32@hi+24
	v_dual_mov_b32 v0, s0 :: v_dual_mov_b32 v1, s1
	v_dual_mov_b32 v2, s2 :: v_dual_mov_b32 v3, s3
	;; [unrolled: 1-line block ×3, first 2 shown]
	s_wait_alu 0xfffe
	v_mov_b32_e32 v6, s5
	s_getpc_b64 s[6:7]
	s_wait_alu 0xfffe
	s_sext_i32_i16 s7, s7
	s_add_co_u32 s6, s6, __assert_fail@rel32@lo+12
	s_wait_alu 0xfffe
	s_add_co_ci_u32 s7, s7, __assert_fail@rel32@hi+24
	s_mov_b64 s[8:9], s[52:53]
	s_wait_alu 0xfffe
	s_swappc_b64 s[30:31], s[6:7]
	s_or_b32 s18, s18, exec_lo
.LBB6_1304:
	s_wait_alu 0xfffe
	s_or_b32 exec_lo, exec_lo, s19
	s_delay_alu instid0(SALU_CYCLE_1)
	s_and_not1_b32 s0, s34, exec_lo
	s_and_b32 s1, s18, exec_lo
	s_wait_alu 0xfffe
	s_or_b32 s34, s0, s1
	s_and_b32 s0, s17, exec_lo
.LBB6_1305:
	s_or_b32 exec_lo, exec_lo, s35
	s_delay_alu instid0(SALU_CYCLE_1)
	s_and_not1_b32 s1, s69, exec_lo
	s_wait_alu 0xfffe
	s_and_b32 s2, s34, exec_lo
	s_wait_alu 0xfffe
	s_or_b32 s69, s1, s2
	s_and_b32 s1, s0, exec_lo
.LBB6_1306:
	s_wait_alu 0xfffe
	s_or_b32 exec_lo, exec_lo, s70
	s_delay_alu instid0(SALU_CYCLE_1)
	s_and_not1_b32 s0, s67, exec_lo
	s_and_b32 s2, s69, exec_lo
	s_and_b32 s1, s1, exec_lo
	s_wait_alu 0xfffe
	s_or_b32 s67, s0, s2
.LBB6_1307:
	s_wait_alu 0xfffe
	s_or_b32 exec_lo, exec_lo, s68
	v_readlane_b32 s0, v59, 0
	s_and_b32 s2, s67, exec_lo
	s_and_b32 s17, s1, exec_lo
	s_and_not1_b32 s0, s0, exec_lo
	s_wait_alu 0xfffe
	s_or_b32 s18, s0, s2
.LBB6_1308:
	s_wait_alu 0xfffe
	s_and_not1_saveexec_b32 s19, s49
	s_cbranch_execz .LBB6_1451
; %bb.1309:
	s_load_b64 s[2:3], s[52:53], 0x50
	v_mbcnt_lo_u32_b32 v31, -1, 0
	v_mov_b32_e32 v6, 0
	v_mov_b32_e32 v7, 0
	s_delay_alu instid0(VALU_DEP_3) | instskip(SKIP_1) | instid1(VALU_DEP_1)
	v_readfirstlane_b32 s0, v31
	s_wait_alu 0xf1ff
	v_cmp_eq_u32_e64 s0, s0, v31
	s_and_saveexec_b32 s1, s0
	s_cbranch_execz .LBB6_1315
; %bb.1310:
	v_mov_b32_e32 v0, 0
	s_mov_b32 s4, exec_lo
	s_wait_kmcnt 0x0
	global_load_b64 v[3:4], v0, s[2:3] offset:24 scope:SCOPE_SYS
	s_wait_loadcnt 0x0
	global_inv scope:SCOPE_SYS
	s_clause 0x1
	global_load_b64 v[1:2], v0, s[2:3] offset:40
	global_load_b64 v[5:6], v0, s[2:3]
	s_wait_loadcnt 0x1
	v_and_b32_e32 v2, v2, v4
	v_and_b32_e32 v1, v1, v3
	s_delay_alu instid0(VALU_DEP_2) | instskip(NEXT) | instid1(VALU_DEP_2)
	v_mul_lo_u32 v2, 24, v2
	v_mul_lo_u32 v7, 0, v1
	v_mul_hi_u32 v8, 24, v1
	v_mul_lo_u32 v1, 24, v1
	s_delay_alu instid0(VALU_DEP_3) | instskip(SKIP_1) | instid1(VALU_DEP_2)
	v_add_nc_u32_e32 v2, v2, v7
	s_wait_loadcnt 0x0
	v_add_co_u32 v1, vcc_lo, v5, v1
	s_delay_alu instid0(VALU_DEP_2) | instskip(SKIP_1) | instid1(VALU_DEP_1)
	v_add_nc_u32_e32 v2, v2, v8
	s_wait_alu 0xfffd
	v_add_co_ci_u32_e64 v2, null, v6, v2, vcc_lo
	global_load_b64 v[1:2], v[1:2], off scope:SCOPE_SYS
	s_wait_loadcnt 0x0
	global_atomic_cmpswap_b64 v[6:7], v0, v[1:4], s[2:3] offset:24 th:TH_ATOMIC_RETURN scope:SCOPE_SYS
	s_wait_loadcnt 0x0
	global_inv scope:SCOPE_SYS
	v_cmpx_ne_u64_e64 v[6:7], v[3:4]
	s_cbranch_execz .LBB6_1314
; %bb.1311:
	s_mov_b32 s5, 0
.LBB6_1312:                             ; =>This Inner Loop Header: Depth=1
	s_sleep 1
	s_clause 0x1
	global_load_b64 v[1:2], v0, s[2:3] offset:40
	global_load_b64 v[8:9], v0, s[2:3]
	v_dual_mov_b32 v3, v6 :: v_dual_mov_b32 v4, v7
	s_wait_loadcnt 0x1
	s_delay_alu instid0(VALU_DEP_1) | instskip(NEXT) | instid1(VALU_DEP_2)
	v_and_b32_e32 v1, v1, v3
	v_and_b32_e32 v2, v2, v4
	s_wait_loadcnt 0x0
	s_delay_alu instid0(VALU_DEP_2) | instskip(NEXT) | instid1(VALU_DEP_1)
	v_mad_co_u64_u32 v[5:6], null, v1, 24, v[8:9]
	v_mov_b32_e32 v1, v6
	s_delay_alu instid0(VALU_DEP_1) | instskip(NEXT) | instid1(VALU_DEP_1)
	v_mad_co_u64_u32 v[1:2], null, v2, 24, v[1:2]
	v_mov_b32_e32 v6, v1
	global_load_b64 v[1:2], v[5:6], off scope:SCOPE_SYS
	s_wait_loadcnt 0x0
	global_atomic_cmpswap_b64 v[6:7], v0, v[1:4], s[2:3] offset:24 th:TH_ATOMIC_RETURN scope:SCOPE_SYS
	s_wait_loadcnt 0x0
	global_inv scope:SCOPE_SYS
	v_cmp_eq_u64_e32 vcc_lo, v[6:7], v[3:4]
	s_wait_alu 0xfffe
	s_or_b32 s5, vcc_lo, s5
	s_wait_alu 0xfffe
	s_and_not1_b32 exec_lo, exec_lo, s5
	s_cbranch_execnz .LBB6_1312
; %bb.1313:
	s_or_b32 exec_lo, exec_lo, s5
.LBB6_1314:
	s_wait_alu 0xfffe
	s_or_b32 exec_lo, exec_lo, s4
.LBB6_1315:
	s_wait_alu 0xfffe
	s_or_b32 exec_lo, exec_lo, s1
	v_readfirstlane_b32 s4, v6
	v_mov_b32_e32 v5, 0
	v_readfirstlane_b32 s5, v7
	s_mov_b32 s1, exec_lo
	s_wait_kmcnt 0x0
	s_clause 0x1
	global_load_b64 v[8:9], v5, s[2:3] offset:40
	global_load_b128 v[0:3], v5, s[2:3]
	s_wait_loadcnt 0x1
	s_wait_alu 0xf1ff
	v_and_b32_e32 v11, s5, v9
	v_and_b32_e32 v10, s4, v8
	s_delay_alu instid0(VALU_DEP_2) | instskip(NEXT) | instid1(VALU_DEP_2)
	v_mul_lo_u32 v4, 24, v11
	v_mul_lo_u32 v6, 0, v10
	v_mul_hi_u32 v7, 24, v10
	v_mul_lo_u32 v8, 24, v10
	s_delay_alu instid0(VALU_DEP_3) | instskip(SKIP_1) | instid1(VALU_DEP_2)
	v_add_nc_u32_e32 v4, v4, v6
	s_wait_loadcnt 0x0
	v_add_co_u32 v8, vcc_lo, v0, v8
	s_delay_alu instid0(VALU_DEP_2) | instskip(SKIP_1) | instid1(VALU_DEP_1)
	v_add_nc_u32_e32 v4, v4, v7
	s_wait_alu 0xfffd
	v_add_co_ci_u32_e64 v9, null, v1, v4, vcc_lo
	s_and_saveexec_b32 s6, s0
	s_cbranch_execz .LBB6_1317
; %bb.1316:
	s_wait_alu 0xfffe
	v_dual_mov_b32 v4, s1 :: v_dual_mov_b32 v7, 1
	v_mov_b32_e32 v6, 2
	global_store_b128 v[8:9], v[4:7], off offset:8
.LBB6_1317:
	s_wait_alu 0xfffe
	s_or_b32 exec_lo, exec_lo, s6
	v_lshlrev_b64_e32 v[10:11], 12, v[10:11]
	v_dual_mov_b32 v7, v5 :: v_dual_lshlrev_b32 v30, 6, v31
	s_mov_b32 s8, 0
	s_wait_alu 0xfffe
	s_mov_b32 s11, s8
	s_delay_alu instid0(VALU_DEP_2)
	v_add_co_u32 v2, vcc_lo, v2, v10
	s_wait_alu 0xfffd
	v_add_co_ci_u32_e64 v3, null, v3, v11, vcc_lo
	s_mov_b32 s9, s8
	v_add_co_u32 v10, vcc_lo, v2, v30
	s_mov_b32 s10, s8
	s_wait_alu 0xfffe
	v_dual_mov_b32 v4, 33 :: v_dual_mov_b32 v15, s11
	v_dual_mov_b32 v6, v5 :: v_dual_mov_b32 v13, s9
	v_readfirstlane_b32 s6, v2
	v_readfirstlane_b32 s7, v3
	s_wait_alu 0xfffd
	v_add_co_ci_u32_e64 v11, null, 0, v3, vcc_lo
	v_mov_b32_e32 v14, s10
	v_mov_b32_e32 v12, s8
	s_clause 0x3
	global_store_b128 v30, v[4:7], s[6:7]
	global_store_b128 v30, v[12:15], s[6:7] offset:16
	global_store_b128 v30, v[12:15], s[6:7] offset:32
	;; [unrolled: 1-line block ×3, first 2 shown]
	s_and_saveexec_b32 s1, s0
	s_cbranch_execz .LBB6_1325
; %bb.1318:
	v_mov_b32_e32 v6, 0
	s_mov_b32 s6, exec_lo
	s_clause 0x1
	global_load_b64 v[14:15], v6, s[2:3] offset:32 scope:SCOPE_SYS
	global_load_b64 v[2:3], v6, s[2:3] offset:40
	v_dual_mov_b32 v13, s5 :: v_dual_mov_b32 v12, s4
	s_wait_loadcnt 0x0
	v_and_b32_e32 v3, s5, v3
	v_and_b32_e32 v2, s4, v2
	s_delay_alu instid0(VALU_DEP_2) | instskip(NEXT) | instid1(VALU_DEP_2)
	v_mul_lo_u32 v3, 24, v3
	v_mul_lo_u32 v4, 0, v2
	v_mul_hi_u32 v5, 24, v2
	v_mul_lo_u32 v2, 24, v2
	s_delay_alu instid0(VALU_DEP_3) | instskip(NEXT) | instid1(VALU_DEP_2)
	v_add_nc_u32_e32 v3, v3, v4
	v_add_co_u32 v4, vcc_lo, v0, v2
	s_delay_alu instid0(VALU_DEP_2) | instskip(SKIP_1) | instid1(VALU_DEP_1)
	v_add_nc_u32_e32 v3, v3, v5
	s_wait_alu 0xfffd
	v_add_co_ci_u32_e64 v5, null, v1, v3, vcc_lo
	global_store_b64 v[4:5], v[14:15], off
	global_wb scope:SCOPE_SYS
	s_wait_storecnt 0x0
	global_atomic_cmpswap_b64 v[2:3], v6, v[12:15], s[2:3] offset:32 th:TH_ATOMIC_RETURN scope:SCOPE_SYS
	s_wait_loadcnt 0x0
	v_cmpx_ne_u64_e64 v[2:3], v[14:15]
	s_cbranch_execz .LBB6_1321
; %bb.1319:
	s_mov_b32 s7, 0
.LBB6_1320:                             ; =>This Inner Loop Header: Depth=1
	v_dual_mov_b32 v0, s4 :: v_dual_mov_b32 v1, s5
	s_sleep 1
	global_store_b64 v[4:5], v[2:3], off
	global_wb scope:SCOPE_SYS
	s_wait_storecnt 0x0
	global_atomic_cmpswap_b64 v[0:1], v6, v[0:3], s[2:3] offset:32 th:TH_ATOMIC_RETURN scope:SCOPE_SYS
	s_wait_loadcnt 0x0
	v_cmp_eq_u64_e32 vcc_lo, v[0:1], v[2:3]
	v_dual_mov_b32 v3, v1 :: v_dual_mov_b32 v2, v0
	s_wait_alu 0xfffe
	s_or_b32 s7, vcc_lo, s7
	s_wait_alu 0xfffe
	s_and_not1_b32 exec_lo, exec_lo, s7
	s_cbranch_execnz .LBB6_1320
.LBB6_1321:
	s_wait_alu 0xfffe
	s_or_b32 exec_lo, exec_lo, s6
	v_mov_b32_e32 v3, 0
	s_mov_b32 s7, exec_lo
	s_mov_b32 s6, exec_lo
	s_wait_alu 0xfffe
	v_mbcnt_lo_u32_b32 v2, s7, 0
	global_load_b64 v[0:1], v3, s[2:3] offset:16
	v_cmpx_eq_u32_e32 0, v2
	s_cbranch_execz .LBB6_1323
; %bb.1322:
	s_bcnt1_i32_b32 s7, s7
	s_wait_alu 0xfffe
	v_mov_b32_e32 v2, s7
	global_wb scope:SCOPE_SYS
	s_wait_loadcnt 0x0
	s_wait_storecnt 0x0
	global_atomic_add_u64 v[0:1], v[2:3], off offset:8 scope:SCOPE_SYS
.LBB6_1323:
	s_or_b32 exec_lo, exec_lo, s6
	s_wait_loadcnt 0x0
	global_load_b64 v[2:3], v[0:1], off offset:16
	s_wait_loadcnt 0x0
	v_cmp_eq_u64_e32 vcc_lo, 0, v[2:3]
	s_cbranch_vccnz .LBB6_1325
; %bb.1324:
	global_load_b32 v0, v[0:1], off offset:24
	v_mov_b32_e32 v1, 0
	s_wait_loadcnt 0x0
	v_readfirstlane_b32 s6, v0
	global_wb scope:SCOPE_SYS
	s_wait_storecnt 0x0
	global_store_b64 v[2:3], v[0:1], off scope:SCOPE_SYS
	s_and_b32 m0, s6, 0xffffff
	s_sendmsg sendmsg(MSG_INTERRUPT)
.LBB6_1325:
	s_wait_alu 0xfffe
	s_or_b32 exec_lo, exec_lo, s1
	s_branch .LBB6_1329
.LBB6_1326:                             ;   in Loop: Header=BB6_1329 Depth=1
	s_wait_alu 0xfffe
	s_or_b32 exec_lo, exec_lo, s1
	s_delay_alu instid0(VALU_DEP_1)
	v_readfirstlane_b32 s1, v0
	s_cmp_eq_u32 s1, 0
	s_cbranch_scc1 .LBB6_1328
; %bb.1327:                             ;   in Loop: Header=BB6_1329 Depth=1
	s_sleep 1
	s_cbranch_execnz .LBB6_1329
	s_branch .LBB6_1331
.LBB6_1328:
	s_branch .LBB6_1331
.LBB6_1329:                             ; =>This Inner Loop Header: Depth=1
	v_mov_b32_e32 v0, 1
	s_and_saveexec_b32 s1, s0
	s_cbranch_execz .LBB6_1326
; %bb.1330:                             ;   in Loop: Header=BB6_1329 Depth=1
	global_load_b32 v0, v[8:9], off offset:20 scope:SCOPE_SYS
	s_wait_loadcnt 0x0
	global_inv scope:SCOPE_SYS
	v_and_b32_e32 v0, 1, v0
	s_branch .LBB6_1326
.LBB6_1331:
	global_load_b64 v[0:1], v[10:11], off
	s_and_saveexec_b32 s6, s0
	s_cbranch_execz .LBB6_1335
; %bb.1332:
	v_mov_b32_e32 v8, 0
	s_clause 0x2
	global_load_b64 v[2:3], v8, s[2:3] offset:40
	global_load_b64 v[11:12], v8, s[2:3] offset:24 scope:SCOPE_SYS
	global_load_b64 v[4:5], v8, s[2:3]
	s_wait_loadcnt 0x2
	v_readfirstlane_b32 s8, v2
	v_readfirstlane_b32 s9, v3
	s_add_nc_u64 s[0:1], s[8:9], 1
	s_wait_alu 0xfffe
	s_add_nc_u64 s[4:5], s[0:1], s[4:5]
	s_wait_alu 0xfffe
	s_cmp_eq_u64 s[4:5], 0
	s_cselect_b32 s1, s1, s5
	s_cselect_b32 s0, s0, s4
	s_wait_alu 0xfffe
	v_mov_b32_e32 v10, s1
	s_and_b64 s[4:5], s[0:1], s[8:9]
	v_mov_b32_e32 v9, s0
	s_wait_alu 0xfffe
	s_mul_u64 s[4:5], s[4:5], 24
	s_wait_loadcnt 0x0
	s_wait_alu 0xfffe
	v_add_co_u32 v6, vcc_lo, v4, s4
	s_wait_alu 0xfffd
	v_add_co_ci_u32_e64 v7, null, s5, v5, vcc_lo
	global_store_b64 v[6:7], v[11:12], off
	global_wb scope:SCOPE_SYS
	s_wait_storecnt 0x0
	global_atomic_cmpswap_b64 v[4:5], v8, v[9:12], s[2:3] offset:24 th:TH_ATOMIC_RETURN scope:SCOPE_SYS
	s_wait_loadcnt 0x0
	v_cmp_ne_u64_e32 vcc_lo, v[4:5], v[11:12]
	s_and_b32 exec_lo, exec_lo, vcc_lo
	s_cbranch_execz .LBB6_1335
; %bb.1333:
	s_mov_b32 s4, 0
.LBB6_1334:                             ; =>This Inner Loop Header: Depth=1
	v_dual_mov_b32 v2, s0 :: v_dual_mov_b32 v3, s1
	s_sleep 1
	global_store_b64 v[6:7], v[4:5], off
	global_wb scope:SCOPE_SYS
	s_wait_storecnt 0x0
	global_atomic_cmpswap_b64 v[2:3], v8, v[2:5], s[2:3] offset:24 th:TH_ATOMIC_RETURN scope:SCOPE_SYS
	s_wait_loadcnt 0x0
	v_cmp_eq_u64_e32 vcc_lo, v[2:3], v[4:5]
	v_dual_mov_b32 v5, v3 :: v_dual_mov_b32 v4, v2
	s_wait_alu 0xfffe
	s_or_b32 s4, vcc_lo, s4
	s_wait_alu 0xfffe
	s_and_not1_b32 exec_lo, exec_lo, s4
	s_cbranch_execnz .LBB6_1334
.LBB6_1335:
	s_wait_alu 0xfffe
	s_or_b32 exec_lo, exec_lo, s6
	s_getpc_b64 s[4:5]
	s_wait_alu 0xfffe
	s_sext_i32_i16 s5, s5
	s_add_co_u32 s4, s4, .str.28@rel32@lo+12
	s_wait_alu 0xfffe
	s_add_co_ci_u32 s5, s5, .str.28@rel32@hi+24
	s_wait_alu 0xfffe
	s_cmp_lg_u64 s[4:5], 0
	s_cbranch_scc0 .LBB6_1421
; %bb.1336:
	s_wait_loadcnt 0x0
	v_dual_mov_b32 v7, v1 :: v_dual_and_b32 v6, -3, v0
	v_dual_mov_b32 v3, 0 :: v_dual_mov_b32 v4, 2
	v_mov_b32_e32 v5, 1
	s_mov_b64 s[6:7], 35
	s_branch .LBB6_1338
.LBB6_1337:                             ;   in Loop: Header=BB6_1338 Depth=1
	s_wait_alu 0xfffe
	s_or_b32 exec_lo, exec_lo, s12
	s_sub_nc_u64 s[6:7], s[6:7], s[8:9]
	s_add_nc_u64 s[4:5], s[4:5], s[8:9]
	s_wait_alu 0xfffe
	s_cmp_lg_u64 s[6:7], 0
	s_cbranch_scc0 .LBB6_1420
.LBB6_1338:                             ; =>This Loop Header: Depth=1
                                        ;     Child Loop BB6_1341 Depth 2
                                        ;     Child Loop BB6_1349 Depth 2
                                        ;     Child Loop BB6_1357 Depth 2
                                        ;     Child Loop BB6_1365 Depth 2
                                        ;     Child Loop BB6_1373 Depth 2
                                        ;     Child Loop BB6_1381 Depth 2
                                        ;     Child Loop BB6_1389 Depth 2
                                        ;     Child Loop BB6_1397 Depth 2
                                        ;     Child Loop BB6_1405 Depth 2
                                        ;     Child Loop BB6_1414 Depth 2
                                        ;     Child Loop BB6_1419 Depth 2
	s_wait_alu 0xfffe
	v_cmp_lt_u64_e64 s0, s[6:7], 56
	v_cmp_gt_u64_e64 s1, s[6:7], 7
	s_and_b32 s0, s0, exec_lo
	s_cselect_b32 s9, s7, 0
	s_cselect_b32 s8, s6, 56
	s_and_b32 vcc_lo, exec_lo, s1
	s_wait_alu 0xfffe
	s_cbranch_vccnz .LBB6_1343
; %bb.1339:                             ;   in Loop: Header=BB6_1338 Depth=1
	s_wait_loadcnt 0x0
	v_mov_b32_e32 v8, 0
	v_mov_b32_e32 v9, 0
	s_cmp_eq_u64 s[6:7], 0
	s_cbranch_scc1 .LBB6_1342
; %bb.1340:                             ;   in Loop: Header=BB6_1338 Depth=1
	s_mov_b64 s[0:1], 0
	s_mov_b64 s[10:11], 0
.LBB6_1341:                             ;   Parent Loop BB6_1338 Depth=1
                                        ; =>  This Inner Loop Header: Depth=2
	s_wait_alu 0xfffe
	s_add_nc_u64 s[12:13], s[4:5], s[10:11]
	s_add_nc_u64 s[10:11], s[10:11], 1
	global_load_u8 v2, v3, s[12:13]
	s_wait_alu 0xfffe
	s_cmp_lg_u32 s8, s10
	s_wait_loadcnt 0x0
	v_and_b32_e32 v2, 0xffff, v2
	s_delay_alu instid0(VALU_DEP_1) | instskip(SKIP_1) | instid1(VALU_DEP_1)
	v_lshlrev_b64_e32 v[10:11], s0, v[2:3]
	s_add_nc_u64 s[0:1], s[0:1], 8
	v_or_b32_e32 v8, v10, v8
	s_delay_alu instid0(VALU_DEP_2)
	v_or_b32_e32 v9, v11, v9
	s_cbranch_scc1 .LBB6_1341
.LBB6_1342:                             ;   in Loop: Header=BB6_1338 Depth=1
	s_mov_b32 s0, 0
	s_mov_b64 s[10:11], s[4:5]
	s_branch .LBB6_1344
.LBB6_1343:                             ;   in Loop: Header=BB6_1338 Depth=1
	s_add_nc_u64 s[10:11], s[4:5], 8
	s_mov_b32 s0, -1
.LBB6_1344:                             ;   in Loop: Header=BB6_1338 Depth=1
	s_wait_alu 0xfffe
	s_and_not1_b32 vcc_lo, exec_lo, s0
	s_mov_b32 s14, 0
	s_wait_alu 0xfffe
	s_cbranch_vccnz .LBB6_1346
; %bb.1345:                             ;   in Loop: Header=BB6_1338 Depth=1
	s_wait_loadcnt 0x0
	global_load_b64 v[8:9], v3, s[4:5]
	s_add_co_i32 s14, s8, -8
.LBB6_1346:                             ;   in Loop: Header=BB6_1338 Depth=1
	s_wait_alu 0xfffe
	s_cmp_gt_u32 s14, 7
	s_cbranch_scc1 .LBB6_1351
; %bb.1347:                             ;   in Loop: Header=BB6_1338 Depth=1
	v_mov_b32_e32 v10, 0
	v_mov_b32_e32 v11, 0
	s_cmp_eq_u32 s14, 0
	s_cbranch_scc1 .LBB6_1350
; %bb.1348:                             ;   in Loop: Header=BB6_1338 Depth=1
	s_mov_b64 s[0:1], 0
	s_mov_b64 s[12:13], 0
.LBB6_1349:                             ;   Parent Loop BB6_1338 Depth=1
                                        ; =>  This Inner Loop Header: Depth=2
	s_wait_alu 0xfffe
	s_add_nc_u64 s[20:21], s[10:11], s[12:13]
	s_add_nc_u64 s[12:13], s[12:13], 1
	global_load_u8 v2, v3, s[20:21]
	s_wait_alu 0xfffe
	s_cmp_lg_u32 s14, s12
	s_wait_loadcnt 0x0
	v_and_b32_e32 v2, 0xffff, v2
	s_delay_alu instid0(VALU_DEP_1) | instskip(SKIP_1) | instid1(VALU_DEP_1)
	v_lshlrev_b64_e32 v[12:13], s0, v[2:3]
	s_add_nc_u64 s[0:1], s[0:1], 8
	v_or_b32_e32 v10, v12, v10
	s_delay_alu instid0(VALU_DEP_2)
	v_or_b32_e32 v11, v13, v11
	s_cbranch_scc1 .LBB6_1349
.LBB6_1350:                             ;   in Loop: Header=BB6_1338 Depth=1
	s_mov_b32 s12, 0
	s_mov_b64 s[0:1], s[10:11]
	s_branch .LBB6_1352
.LBB6_1351:                             ;   in Loop: Header=BB6_1338 Depth=1
	s_add_nc_u64 s[0:1], s[10:11], 8
	s_mov_b32 s12, -1
                                        ; implicit-def: $vgpr10_vgpr11
.LBB6_1352:                             ;   in Loop: Header=BB6_1338 Depth=1
	s_wait_alu 0xfffe
	s_and_not1_b32 vcc_lo, exec_lo, s12
	s_mov_b32 s15, 0
	s_wait_alu 0xfffe
	s_cbranch_vccnz .LBB6_1354
; %bb.1353:                             ;   in Loop: Header=BB6_1338 Depth=1
	global_load_b64 v[10:11], v3, s[10:11]
	s_add_co_i32 s15, s14, -8
.LBB6_1354:                             ;   in Loop: Header=BB6_1338 Depth=1
	s_wait_alu 0xfffe
	s_cmp_gt_u32 s15, 7
	s_cbranch_scc1 .LBB6_1359
; %bb.1355:                             ;   in Loop: Header=BB6_1338 Depth=1
	v_mov_b32_e32 v12, 0
	v_mov_b32_e32 v13, 0
	s_cmp_eq_u32 s15, 0
	s_cbranch_scc1 .LBB6_1358
; %bb.1356:                             ;   in Loop: Header=BB6_1338 Depth=1
	s_mov_b64 s[10:11], 0
	s_mov_b64 s[12:13], 0
.LBB6_1357:                             ;   Parent Loop BB6_1338 Depth=1
                                        ; =>  This Inner Loop Header: Depth=2
	s_wait_alu 0xfffe
	s_add_nc_u64 s[20:21], s[0:1], s[12:13]
	s_add_nc_u64 s[12:13], s[12:13], 1
	global_load_u8 v2, v3, s[20:21]
	s_wait_alu 0xfffe
	s_cmp_lg_u32 s15, s12
	s_wait_loadcnt 0x0
	v_and_b32_e32 v2, 0xffff, v2
	s_delay_alu instid0(VALU_DEP_1) | instskip(SKIP_1) | instid1(VALU_DEP_1)
	v_lshlrev_b64_e32 v[14:15], s10, v[2:3]
	s_add_nc_u64 s[10:11], s[10:11], 8
	v_or_b32_e32 v12, v14, v12
	s_delay_alu instid0(VALU_DEP_2)
	v_or_b32_e32 v13, v15, v13
	s_cbranch_scc1 .LBB6_1357
.LBB6_1358:                             ;   in Loop: Header=BB6_1338 Depth=1
	s_mov_b32 s12, 0
	s_mov_b64 s[10:11], s[0:1]
	s_branch .LBB6_1360
.LBB6_1359:                             ;   in Loop: Header=BB6_1338 Depth=1
	s_add_nc_u64 s[10:11], s[0:1], 8
	s_mov_b32 s12, -1
.LBB6_1360:                             ;   in Loop: Header=BB6_1338 Depth=1
	s_wait_alu 0xfffe
	s_and_not1_b32 vcc_lo, exec_lo, s12
	s_mov_b32 s14, 0
	s_wait_alu 0xfffe
	s_cbranch_vccnz .LBB6_1362
; %bb.1361:                             ;   in Loop: Header=BB6_1338 Depth=1
	global_load_b64 v[12:13], v3, s[0:1]
	s_add_co_i32 s14, s15, -8
.LBB6_1362:                             ;   in Loop: Header=BB6_1338 Depth=1
	s_wait_alu 0xfffe
	s_cmp_gt_u32 s14, 7
	s_cbranch_scc1 .LBB6_1367
; %bb.1363:                             ;   in Loop: Header=BB6_1338 Depth=1
	v_mov_b32_e32 v14, 0
	v_mov_b32_e32 v15, 0
	s_cmp_eq_u32 s14, 0
	s_cbranch_scc1 .LBB6_1366
; %bb.1364:                             ;   in Loop: Header=BB6_1338 Depth=1
	s_mov_b64 s[0:1], 0
	s_mov_b64 s[12:13], 0
.LBB6_1365:                             ;   Parent Loop BB6_1338 Depth=1
                                        ; =>  This Inner Loop Header: Depth=2
	s_wait_alu 0xfffe
	s_add_nc_u64 s[20:21], s[10:11], s[12:13]
	s_add_nc_u64 s[12:13], s[12:13], 1
	global_load_u8 v2, v3, s[20:21]
	s_wait_alu 0xfffe
	s_cmp_lg_u32 s14, s12
	s_wait_loadcnt 0x0
	v_and_b32_e32 v2, 0xffff, v2
	s_delay_alu instid0(VALU_DEP_1) | instskip(SKIP_1) | instid1(VALU_DEP_1)
	v_lshlrev_b64_e32 v[16:17], s0, v[2:3]
	s_add_nc_u64 s[0:1], s[0:1], 8
	v_or_b32_e32 v14, v16, v14
	s_delay_alu instid0(VALU_DEP_2)
	v_or_b32_e32 v15, v17, v15
	s_cbranch_scc1 .LBB6_1365
.LBB6_1366:                             ;   in Loop: Header=BB6_1338 Depth=1
	s_mov_b32 s12, 0
	s_mov_b64 s[0:1], s[10:11]
	s_branch .LBB6_1368
.LBB6_1367:                             ;   in Loop: Header=BB6_1338 Depth=1
	s_add_nc_u64 s[0:1], s[10:11], 8
	s_mov_b32 s12, -1
                                        ; implicit-def: $vgpr14_vgpr15
.LBB6_1368:                             ;   in Loop: Header=BB6_1338 Depth=1
	s_wait_alu 0xfffe
	s_and_not1_b32 vcc_lo, exec_lo, s12
	s_mov_b32 s15, 0
	s_wait_alu 0xfffe
	s_cbranch_vccnz .LBB6_1370
; %bb.1369:                             ;   in Loop: Header=BB6_1338 Depth=1
	global_load_b64 v[14:15], v3, s[10:11]
	s_add_co_i32 s15, s14, -8
.LBB6_1370:                             ;   in Loop: Header=BB6_1338 Depth=1
	s_wait_alu 0xfffe
	s_cmp_gt_u32 s15, 7
	s_cbranch_scc1 .LBB6_1375
; %bb.1371:                             ;   in Loop: Header=BB6_1338 Depth=1
	v_mov_b32_e32 v16, 0
	v_mov_b32_e32 v17, 0
	s_cmp_eq_u32 s15, 0
	s_cbranch_scc1 .LBB6_1374
; %bb.1372:                             ;   in Loop: Header=BB6_1338 Depth=1
	s_mov_b64 s[10:11], 0
	s_mov_b64 s[12:13], 0
.LBB6_1373:                             ;   Parent Loop BB6_1338 Depth=1
                                        ; =>  This Inner Loop Header: Depth=2
	s_wait_alu 0xfffe
	s_add_nc_u64 s[20:21], s[0:1], s[12:13]
	s_add_nc_u64 s[12:13], s[12:13], 1
	global_load_u8 v2, v3, s[20:21]
	s_wait_alu 0xfffe
	s_cmp_lg_u32 s15, s12
	s_wait_loadcnt 0x0
	v_and_b32_e32 v2, 0xffff, v2
	s_delay_alu instid0(VALU_DEP_1) | instskip(SKIP_1) | instid1(VALU_DEP_1)
	v_lshlrev_b64_e32 v[18:19], s10, v[2:3]
	s_add_nc_u64 s[10:11], s[10:11], 8
	v_or_b32_e32 v16, v18, v16
	s_delay_alu instid0(VALU_DEP_2)
	v_or_b32_e32 v17, v19, v17
	s_cbranch_scc1 .LBB6_1373
.LBB6_1374:                             ;   in Loop: Header=BB6_1338 Depth=1
	s_mov_b32 s12, 0
	s_mov_b64 s[10:11], s[0:1]
	s_branch .LBB6_1376
.LBB6_1375:                             ;   in Loop: Header=BB6_1338 Depth=1
	s_add_nc_u64 s[10:11], s[0:1], 8
	s_mov_b32 s12, -1
.LBB6_1376:                             ;   in Loop: Header=BB6_1338 Depth=1
	s_wait_alu 0xfffe
	s_and_not1_b32 vcc_lo, exec_lo, s12
	s_mov_b32 s14, 0
	s_wait_alu 0xfffe
	s_cbranch_vccnz .LBB6_1378
; %bb.1377:                             ;   in Loop: Header=BB6_1338 Depth=1
	global_load_b64 v[16:17], v3, s[0:1]
	s_add_co_i32 s14, s15, -8
.LBB6_1378:                             ;   in Loop: Header=BB6_1338 Depth=1
	s_wait_alu 0xfffe
	s_cmp_gt_u32 s14, 7
	s_cbranch_scc1 .LBB6_1383
; %bb.1379:                             ;   in Loop: Header=BB6_1338 Depth=1
	v_mov_b32_e32 v18, 0
	v_mov_b32_e32 v19, 0
	s_cmp_eq_u32 s14, 0
	s_cbranch_scc1 .LBB6_1382
; %bb.1380:                             ;   in Loop: Header=BB6_1338 Depth=1
	s_mov_b64 s[0:1], 0
	s_mov_b64 s[12:13], 0
.LBB6_1381:                             ;   Parent Loop BB6_1338 Depth=1
                                        ; =>  This Inner Loop Header: Depth=2
	s_wait_alu 0xfffe
	s_add_nc_u64 s[20:21], s[10:11], s[12:13]
	s_add_nc_u64 s[12:13], s[12:13], 1
	global_load_u8 v2, v3, s[20:21]
	s_wait_alu 0xfffe
	s_cmp_lg_u32 s14, s12
	s_wait_loadcnt 0x0
	v_and_b32_e32 v2, 0xffff, v2
	s_delay_alu instid0(VALU_DEP_1) | instskip(SKIP_1) | instid1(VALU_DEP_1)
	v_lshlrev_b64_e32 v[20:21], s0, v[2:3]
	s_add_nc_u64 s[0:1], s[0:1], 8
	v_or_b32_e32 v18, v20, v18
	s_delay_alu instid0(VALU_DEP_2)
	v_or_b32_e32 v19, v21, v19
	s_cbranch_scc1 .LBB6_1381
.LBB6_1382:                             ;   in Loop: Header=BB6_1338 Depth=1
	s_mov_b32 s12, 0
	s_mov_b64 s[0:1], s[10:11]
	s_branch .LBB6_1384
.LBB6_1383:                             ;   in Loop: Header=BB6_1338 Depth=1
	s_add_nc_u64 s[0:1], s[10:11], 8
	s_mov_b32 s12, -1
                                        ; implicit-def: $vgpr18_vgpr19
.LBB6_1384:                             ;   in Loop: Header=BB6_1338 Depth=1
	s_wait_alu 0xfffe
	s_and_not1_b32 vcc_lo, exec_lo, s12
	s_mov_b32 s15, 0
	s_wait_alu 0xfffe
	s_cbranch_vccnz .LBB6_1386
; %bb.1385:                             ;   in Loop: Header=BB6_1338 Depth=1
	global_load_b64 v[18:19], v3, s[10:11]
	s_add_co_i32 s15, s14, -8
.LBB6_1386:                             ;   in Loop: Header=BB6_1338 Depth=1
	s_wait_alu 0xfffe
	s_cmp_gt_u32 s15, 7
	s_cbranch_scc1 .LBB6_1391
; %bb.1387:                             ;   in Loop: Header=BB6_1338 Depth=1
	v_mov_b32_e32 v20, 0
	v_mov_b32_e32 v21, 0
	s_cmp_eq_u32 s15, 0
	s_cbranch_scc1 .LBB6_1390
; %bb.1388:                             ;   in Loop: Header=BB6_1338 Depth=1
	s_mov_b64 s[10:11], 0
	s_mov_b64 s[12:13], s[0:1]
.LBB6_1389:                             ;   Parent Loop BB6_1338 Depth=1
                                        ; =>  This Inner Loop Header: Depth=2
	global_load_u8 v2, v3, s[12:13]
	s_add_co_i32 s15, s15, -1
	s_wait_alu 0xfffe
	s_add_nc_u64 s[12:13], s[12:13], 1
	s_cmp_lg_u32 s15, 0
	s_wait_loadcnt 0x0
	v_and_b32_e32 v2, 0xffff, v2
	s_delay_alu instid0(VALU_DEP_1) | instskip(SKIP_1) | instid1(VALU_DEP_1)
	v_lshlrev_b64_e32 v[22:23], s10, v[2:3]
	s_add_nc_u64 s[10:11], s[10:11], 8
	v_or_b32_e32 v20, v22, v20
	s_delay_alu instid0(VALU_DEP_2)
	v_or_b32_e32 v21, v23, v21
	s_cbranch_scc1 .LBB6_1389
.LBB6_1390:                             ;   in Loop: Header=BB6_1338 Depth=1
	s_mov_b32 s10, 0
	s_branch .LBB6_1392
.LBB6_1391:                             ;   in Loop: Header=BB6_1338 Depth=1
	s_mov_b32 s10, -1
.LBB6_1392:                             ;   in Loop: Header=BB6_1338 Depth=1
	s_wait_alu 0xfffe
	s_and_not1_b32 vcc_lo, exec_lo, s10
	s_wait_alu 0xfffe
	s_cbranch_vccnz .LBB6_1394
; %bb.1393:                             ;   in Loop: Header=BB6_1338 Depth=1
	global_load_b64 v[20:21], v3, s[0:1]
.LBB6_1394:                             ;   in Loop: Header=BB6_1338 Depth=1
	v_readfirstlane_b32 s0, v31
	v_mov_b32_e32 v26, 0
	v_mov_b32_e32 v27, 0
	s_wait_alu 0xf1ff
	s_delay_alu instid0(VALU_DEP_3)
	v_cmp_eq_u32_e64 s0, s0, v31
	s_and_saveexec_b32 s1, s0
	s_cbranch_execz .LBB6_1400
; %bb.1395:                             ;   in Loop: Header=BB6_1338 Depth=1
	global_load_b64 v[24:25], v3, s[2:3] offset:24 scope:SCOPE_SYS
	s_wait_loadcnt 0x0
	global_inv scope:SCOPE_SYS
	s_clause 0x1
	global_load_b64 v[22:23], v3, s[2:3] offset:40
	global_load_b64 v[26:27], v3, s[2:3]
	s_mov_b32 s10, exec_lo
	s_wait_loadcnt 0x1
	v_and_b32_e32 v2, v23, v25
	v_and_b32_e32 v22, v22, v24
	s_delay_alu instid0(VALU_DEP_2) | instskip(NEXT) | instid1(VALU_DEP_2)
	v_mul_lo_u32 v2, 24, v2
	v_mul_lo_u32 v23, 0, v22
	v_mul_hi_u32 v28, 24, v22
	v_mul_lo_u32 v22, 24, v22
	s_delay_alu instid0(VALU_DEP_3) | instskip(SKIP_1) | instid1(VALU_DEP_2)
	v_add_nc_u32_e32 v2, v2, v23
	s_wait_loadcnt 0x0
	v_add_co_u32 v22, vcc_lo, v26, v22
	s_delay_alu instid0(VALU_DEP_2) | instskip(SKIP_1) | instid1(VALU_DEP_1)
	v_add_nc_u32_e32 v2, v2, v28
	s_wait_alu 0xfffd
	v_add_co_ci_u32_e64 v23, null, v27, v2, vcc_lo
	global_load_b64 v[22:23], v[22:23], off scope:SCOPE_SYS
	s_wait_loadcnt 0x0
	global_atomic_cmpswap_b64 v[26:27], v3, v[22:25], s[2:3] offset:24 th:TH_ATOMIC_RETURN scope:SCOPE_SYS
	s_wait_loadcnt 0x0
	global_inv scope:SCOPE_SYS
	v_cmpx_ne_u64_e64 v[26:27], v[24:25]
	s_cbranch_execz .LBB6_1399
; %bb.1396:                             ;   in Loop: Header=BB6_1338 Depth=1
	s_mov_b32 s11, 0
.LBB6_1397:                             ;   Parent Loop BB6_1338 Depth=1
                                        ; =>  This Inner Loop Header: Depth=2
	s_sleep 1
	s_clause 0x1
	global_load_b64 v[22:23], v3, s[2:3] offset:40
	global_load_b64 v[28:29], v3, s[2:3]
	v_dual_mov_b32 v24, v26 :: v_dual_mov_b32 v25, v27
	s_wait_loadcnt 0x1
	s_delay_alu instid0(VALU_DEP_1) | instskip(NEXT) | instid1(VALU_DEP_2)
	v_and_b32_e32 v2, v22, v24
	v_and_b32_e32 v22, v23, v25
	s_wait_loadcnt 0x0
	s_delay_alu instid0(VALU_DEP_2) | instskip(NEXT) | instid1(VALU_DEP_1)
	v_mad_co_u64_u32 v[26:27], null, v2, 24, v[28:29]
	v_mov_b32_e32 v2, v27
	s_delay_alu instid0(VALU_DEP_1) | instskip(NEXT) | instid1(VALU_DEP_1)
	v_mad_co_u64_u32 v[22:23], null, v22, 24, v[2:3]
	v_mov_b32_e32 v27, v22
	global_load_b64 v[22:23], v[26:27], off scope:SCOPE_SYS
	s_wait_loadcnt 0x0
	global_atomic_cmpswap_b64 v[26:27], v3, v[22:25], s[2:3] offset:24 th:TH_ATOMIC_RETURN scope:SCOPE_SYS
	s_wait_loadcnt 0x0
	global_inv scope:SCOPE_SYS
	v_cmp_eq_u64_e32 vcc_lo, v[26:27], v[24:25]
	s_wait_alu 0xfffe
	s_or_b32 s11, vcc_lo, s11
	s_wait_alu 0xfffe
	s_and_not1_b32 exec_lo, exec_lo, s11
	s_cbranch_execnz .LBB6_1397
; %bb.1398:                             ;   in Loop: Header=BB6_1338 Depth=1
	s_or_b32 exec_lo, exec_lo, s11
.LBB6_1399:                             ;   in Loop: Header=BB6_1338 Depth=1
	s_wait_alu 0xfffe
	s_or_b32 exec_lo, exec_lo, s10
.LBB6_1400:                             ;   in Loop: Header=BB6_1338 Depth=1
	s_wait_alu 0xfffe
	s_or_b32 exec_lo, exec_lo, s1
	s_clause 0x1
	global_load_b64 v[28:29], v3, s[2:3] offset:40
	global_load_b128 v[22:25], v3, s[2:3]
	v_readfirstlane_b32 s11, v27
	v_readfirstlane_b32 s10, v26
	s_mov_b32 s1, exec_lo
	s_wait_loadcnt 0x1
	s_wait_alu 0xf1ff
	v_and_b32_e32 v29, s11, v29
	v_and_b32_e32 v28, s10, v28
	s_delay_alu instid0(VALU_DEP_2) | instskip(NEXT) | instid1(VALU_DEP_2)
	v_mul_lo_u32 v2, 24, v29
	v_mul_lo_u32 v26, 0, v28
	v_mul_hi_u32 v27, 24, v28
	v_mul_lo_u32 v32, 24, v28
	s_delay_alu instid0(VALU_DEP_3) | instskip(SKIP_1) | instid1(VALU_DEP_2)
	v_add_nc_u32_e32 v2, v2, v26
	s_wait_loadcnt 0x0
	v_add_co_u32 v26, vcc_lo, v22, v32
	s_delay_alu instid0(VALU_DEP_2) | instskip(SKIP_1) | instid1(VALU_DEP_1)
	v_add_nc_u32_e32 v2, v2, v27
	s_wait_alu 0xfffd
	v_add_co_ci_u32_e64 v27, null, v23, v2, vcc_lo
	s_and_saveexec_b32 s12, s0
	s_cbranch_execz .LBB6_1402
; %bb.1401:                             ;   in Loop: Header=BB6_1338 Depth=1
	s_wait_alu 0xfffe
	v_mov_b32_e32 v2, s1
	global_store_b128 v[26:27], v[2:5], off offset:8
.LBB6_1402:                             ;   in Loop: Header=BB6_1338 Depth=1
	s_wait_alu 0xfffe
	s_or_b32 exec_lo, exec_lo, s12
	v_cmp_gt_u64_e64 s1, s[6:7], 56
	v_lshlrev_b64_e32 v[28:29], 12, v[28:29]
	v_and_b32_e32 v2, 0xffffff1f, v6
	s_and_b32 s1, s1, exec_lo
	s_delay_alu instid0(VALU_DEP_2)
	v_add_co_u32 v24, vcc_lo, v24, v28
	s_cselect_b32 s1, 0, 2
	s_wait_alu 0xfffd
	v_add_co_ci_u32_e64 v25, null, v25, v29, vcc_lo
	s_wait_alu 0xfffe
	v_or_b32_e32 v2, s1, v2
	s_lshl_b32 s12, s8, 2
	s_wait_alu 0xfffe
	s_add_co_i32 s1, s12, 28
	v_readfirstlane_b32 s12, v24
	v_readfirstlane_b32 s13, v25
	s_wait_alu 0xfffe
	v_and_or_b32 v6, 0x1e0, s1, v2
	s_clause 0x3
	global_store_b128 v30, v[6:9], s[12:13]
	global_store_b128 v30, v[10:13], s[12:13] offset:16
	global_store_b128 v30, v[14:17], s[12:13] offset:32
	;; [unrolled: 1-line block ×3, first 2 shown]
	s_and_saveexec_b32 s1, s0
	s_cbranch_execz .LBB6_1410
; %bb.1403:                             ;   in Loop: Header=BB6_1338 Depth=1
	s_clause 0x1
	global_load_b64 v[14:15], v3, s[2:3] offset:32 scope:SCOPE_SYS
	global_load_b64 v[6:7], v3, s[2:3] offset:40
	v_mov_b32_e32 v12, s10
	s_mov_b32 s12, exec_lo
	s_wait_loadcnt 0x0
	v_dual_mov_b32 v13, s11 :: v_dual_and_b32 v2, s11, v7
	v_and_b32_e32 v6, s10, v6
	s_delay_alu instid0(VALU_DEP_2) | instskip(NEXT) | instid1(VALU_DEP_2)
	v_mul_lo_u32 v2, 24, v2
	v_mul_lo_u32 v7, 0, v6
	v_mul_hi_u32 v8, 24, v6
	v_mul_lo_u32 v6, 24, v6
	s_delay_alu instid0(VALU_DEP_3) | instskip(NEXT) | instid1(VALU_DEP_2)
	v_add_nc_u32_e32 v2, v2, v7
	v_add_co_u32 v10, vcc_lo, v22, v6
	s_delay_alu instid0(VALU_DEP_2) | instskip(SKIP_1) | instid1(VALU_DEP_1)
	v_add_nc_u32_e32 v2, v2, v8
	s_wait_alu 0xfffd
	v_add_co_ci_u32_e64 v11, null, v23, v2, vcc_lo
	global_store_b64 v[10:11], v[14:15], off
	global_wb scope:SCOPE_SYS
	s_wait_storecnt 0x0
	global_atomic_cmpswap_b64 v[8:9], v3, v[12:15], s[2:3] offset:32 th:TH_ATOMIC_RETURN scope:SCOPE_SYS
	s_wait_loadcnt 0x0
	v_cmpx_ne_u64_e64 v[8:9], v[14:15]
	s_cbranch_execz .LBB6_1406
; %bb.1404:                             ;   in Loop: Header=BB6_1338 Depth=1
	s_mov_b32 s13, 0
.LBB6_1405:                             ;   Parent Loop BB6_1338 Depth=1
                                        ; =>  This Inner Loop Header: Depth=2
	v_dual_mov_b32 v6, s10 :: v_dual_mov_b32 v7, s11
	s_sleep 1
	global_store_b64 v[10:11], v[8:9], off
	global_wb scope:SCOPE_SYS
	s_wait_storecnt 0x0
	global_atomic_cmpswap_b64 v[6:7], v3, v[6:9], s[2:3] offset:32 th:TH_ATOMIC_RETURN scope:SCOPE_SYS
	s_wait_loadcnt 0x0
	v_cmp_eq_u64_e32 vcc_lo, v[6:7], v[8:9]
	v_dual_mov_b32 v9, v7 :: v_dual_mov_b32 v8, v6
	s_wait_alu 0xfffe
	s_or_b32 s13, vcc_lo, s13
	s_wait_alu 0xfffe
	s_and_not1_b32 exec_lo, exec_lo, s13
	s_cbranch_execnz .LBB6_1405
.LBB6_1406:                             ;   in Loop: Header=BB6_1338 Depth=1
	s_wait_alu 0xfffe
	s_or_b32 exec_lo, exec_lo, s12
	global_load_b64 v[6:7], v3, s[2:3] offset:16
	s_mov_b32 s13, exec_lo
	s_mov_b32 s12, exec_lo
	s_wait_alu 0xfffe
	v_mbcnt_lo_u32_b32 v2, s13, 0
	s_delay_alu instid0(VALU_DEP_1)
	v_cmpx_eq_u32_e32 0, v2
	s_cbranch_execz .LBB6_1408
; %bb.1407:                             ;   in Loop: Header=BB6_1338 Depth=1
	s_bcnt1_i32_b32 s13, s13
	s_wait_alu 0xfffe
	v_mov_b32_e32 v2, s13
	global_wb scope:SCOPE_SYS
	s_wait_loadcnt 0x0
	s_wait_storecnt 0x0
	global_atomic_add_u64 v[6:7], v[2:3], off offset:8 scope:SCOPE_SYS
.LBB6_1408:                             ;   in Loop: Header=BB6_1338 Depth=1
	s_or_b32 exec_lo, exec_lo, s12
	s_wait_loadcnt 0x0
	global_load_b64 v[8:9], v[6:7], off offset:16
	s_wait_loadcnt 0x0
	v_cmp_eq_u64_e32 vcc_lo, 0, v[8:9]
	s_cbranch_vccnz .LBB6_1410
; %bb.1409:                             ;   in Loop: Header=BB6_1338 Depth=1
	global_load_b32 v2, v[6:7], off offset:24
	s_wait_loadcnt 0x0
	v_readfirstlane_b32 s12, v2
	global_wb scope:SCOPE_SYS
	s_wait_storecnt 0x0
	global_store_b64 v[8:9], v[2:3], off scope:SCOPE_SYS
	s_and_b32 m0, s12, 0xffffff
	s_sendmsg sendmsg(MSG_INTERRUPT)
.LBB6_1410:                             ;   in Loop: Header=BB6_1338 Depth=1
	s_wait_alu 0xfffe
	s_or_b32 exec_lo, exec_lo, s1
	v_add_co_u32 v6, vcc_lo, v24, v30
	s_wait_alu 0xfffd
	v_add_co_ci_u32_e64 v7, null, 0, v25, vcc_lo
	s_branch .LBB6_1414
.LBB6_1411:                             ;   in Loop: Header=BB6_1414 Depth=2
	s_wait_alu 0xfffe
	s_or_b32 exec_lo, exec_lo, s1
	s_delay_alu instid0(VALU_DEP_1)
	v_readfirstlane_b32 s1, v2
	s_cmp_eq_u32 s1, 0
	s_cbranch_scc1 .LBB6_1413
; %bb.1412:                             ;   in Loop: Header=BB6_1414 Depth=2
	s_sleep 1
	s_cbranch_execnz .LBB6_1414
	s_branch .LBB6_1416
.LBB6_1413:                             ;   in Loop: Header=BB6_1338 Depth=1
	s_branch .LBB6_1416
.LBB6_1414:                             ;   Parent Loop BB6_1338 Depth=1
                                        ; =>  This Inner Loop Header: Depth=2
	v_mov_b32_e32 v2, 1
	s_and_saveexec_b32 s1, s0
	s_cbranch_execz .LBB6_1411
; %bb.1415:                             ;   in Loop: Header=BB6_1414 Depth=2
	global_load_b32 v2, v[26:27], off offset:20 scope:SCOPE_SYS
	s_wait_loadcnt 0x0
	global_inv scope:SCOPE_SYS
	v_and_b32_e32 v2, 1, v2
	s_branch .LBB6_1411
.LBB6_1416:                             ;   in Loop: Header=BB6_1338 Depth=1
	global_load_b128 v[6:9], v[6:7], off
	s_and_saveexec_b32 s12, s0
	s_cbranch_execz .LBB6_1337
; %bb.1417:                             ;   in Loop: Header=BB6_1338 Depth=1
	s_wait_loadcnt 0x0
	s_clause 0x2
	global_load_b64 v[8:9], v3, s[2:3] offset:40
	global_load_b64 v[16:17], v3, s[2:3] offset:24 scope:SCOPE_SYS
	global_load_b64 v[10:11], v3, s[2:3]
	s_wait_loadcnt 0x2
	v_readfirstlane_b32 s14, v8
	v_readfirstlane_b32 s15, v9
	s_add_nc_u64 s[0:1], s[14:15], 1
	s_wait_alu 0xfffe
	s_add_nc_u64 s[10:11], s[0:1], s[10:11]
	s_wait_alu 0xfffe
	s_cmp_eq_u64 s[10:11], 0
	s_cselect_b32 s1, s1, s11
	s_cselect_b32 s0, s0, s10
	s_wait_alu 0xfffe
	v_dual_mov_b32 v15, s1 :: v_dual_mov_b32 v14, s0
	s_and_b64 s[10:11], s[0:1], s[14:15]
	s_wait_alu 0xfffe
	s_mul_u64 s[10:11], s[10:11], 24
	s_wait_loadcnt 0x0
	s_wait_alu 0xfffe
	v_add_co_u32 v12, vcc_lo, v10, s10
	s_wait_alu 0xfffd
	v_add_co_ci_u32_e64 v13, null, s11, v11, vcc_lo
	global_store_b64 v[12:13], v[16:17], off
	global_wb scope:SCOPE_SYS
	s_wait_storecnt 0x0
	global_atomic_cmpswap_b64 v[10:11], v3, v[14:17], s[2:3] offset:24 th:TH_ATOMIC_RETURN scope:SCOPE_SYS
	s_wait_loadcnt 0x0
	v_cmp_ne_u64_e32 vcc_lo, v[10:11], v[16:17]
	s_and_b32 exec_lo, exec_lo, vcc_lo
	s_cbranch_execz .LBB6_1337
; %bb.1418:                             ;   in Loop: Header=BB6_1338 Depth=1
	s_mov_b32 s10, 0
.LBB6_1419:                             ;   Parent Loop BB6_1338 Depth=1
                                        ; =>  This Inner Loop Header: Depth=2
	v_dual_mov_b32 v8, s0 :: v_dual_mov_b32 v9, s1
	s_sleep 1
	global_store_b64 v[12:13], v[10:11], off
	global_wb scope:SCOPE_SYS
	s_wait_storecnt 0x0
	global_atomic_cmpswap_b64 v[8:9], v3, v[8:11], s[2:3] offset:24 th:TH_ATOMIC_RETURN scope:SCOPE_SYS
	s_wait_loadcnt 0x0
	v_cmp_eq_u64_e32 vcc_lo, v[8:9], v[10:11]
	v_dual_mov_b32 v11, v9 :: v_dual_mov_b32 v10, v8
	s_wait_alu 0xfffe
	s_or_b32 s10, vcc_lo, s10
	s_wait_alu 0xfffe
	s_and_not1_b32 exec_lo, exec_lo, s10
	s_cbranch_execnz .LBB6_1419
	s_branch .LBB6_1337
.LBB6_1420:
	s_mov_b32 s0, 0
	s_branch .LBB6_1422
.LBB6_1421:
	s_mov_b32 s0, -1
.LBB6_1422:
	s_wait_alu 0xfffe
	s_and_b32 vcc_lo, exec_lo, s0
	s_wait_alu 0xfffe
	s_cbranch_vccz .LBB6_1450
; %bb.1423:
	v_readfirstlane_b32 s0, v31
	s_wait_loadcnt 0x0
	v_mov_b32_e32 v8, 0
	v_mov_b32_e32 v9, 0
	s_wait_alu 0xf1ff
	v_cmp_eq_u32_e64 s0, s0, v31
	s_and_saveexec_b32 s1, s0
	s_cbranch_execz .LBB6_1429
; %bb.1424:
	v_mov_b32_e32 v2, 0
	s_mov_b32 s4, exec_lo
	global_load_b64 v[5:6], v2, s[2:3] offset:24 scope:SCOPE_SYS
	s_wait_loadcnt 0x0
	global_inv scope:SCOPE_SYS
	s_clause 0x1
	global_load_b64 v[3:4], v2, s[2:3] offset:40
	global_load_b64 v[7:8], v2, s[2:3]
	s_wait_loadcnt 0x1
	v_and_b32_e32 v4, v4, v6
	v_and_b32_e32 v3, v3, v5
	s_delay_alu instid0(VALU_DEP_2) | instskip(NEXT) | instid1(VALU_DEP_2)
	v_mul_lo_u32 v4, 24, v4
	v_mul_lo_u32 v9, 0, v3
	v_mul_hi_u32 v10, 24, v3
	v_mul_lo_u32 v3, 24, v3
	s_delay_alu instid0(VALU_DEP_3) | instskip(SKIP_1) | instid1(VALU_DEP_2)
	v_add_nc_u32_e32 v4, v4, v9
	s_wait_loadcnt 0x0
	v_add_co_u32 v3, vcc_lo, v7, v3
	s_delay_alu instid0(VALU_DEP_2) | instskip(SKIP_1) | instid1(VALU_DEP_1)
	v_add_nc_u32_e32 v4, v4, v10
	s_wait_alu 0xfffd
	v_add_co_ci_u32_e64 v4, null, v8, v4, vcc_lo
	global_load_b64 v[3:4], v[3:4], off scope:SCOPE_SYS
	s_wait_loadcnt 0x0
	global_atomic_cmpswap_b64 v[8:9], v2, v[3:6], s[2:3] offset:24 th:TH_ATOMIC_RETURN scope:SCOPE_SYS
	s_wait_loadcnt 0x0
	global_inv scope:SCOPE_SYS
	v_cmpx_ne_u64_e64 v[8:9], v[5:6]
	s_cbranch_execz .LBB6_1428
; %bb.1425:
	s_mov_b32 s5, 0
.LBB6_1426:                             ; =>This Inner Loop Header: Depth=1
	s_sleep 1
	s_clause 0x1
	global_load_b64 v[3:4], v2, s[2:3] offset:40
	global_load_b64 v[10:11], v2, s[2:3]
	v_dual_mov_b32 v5, v8 :: v_dual_mov_b32 v6, v9
	s_wait_loadcnt 0x1
	s_delay_alu instid0(VALU_DEP_1) | instskip(NEXT) | instid1(VALU_DEP_2)
	v_and_b32_e32 v3, v3, v5
	v_and_b32_e32 v4, v4, v6
	s_wait_loadcnt 0x0
	s_delay_alu instid0(VALU_DEP_2) | instskip(NEXT) | instid1(VALU_DEP_1)
	v_mad_co_u64_u32 v[7:8], null, v3, 24, v[10:11]
	v_mov_b32_e32 v3, v8
	s_delay_alu instid0(VALU_DEP_1) | instskip(NEXT) | instid1(VALU_DEP_1)
	v_mad_co_u64_u32 v[3:4], null, v4, 24, v[3:4]
	v_mov_b32_e32 v8, v3
	global_load_b64 v[3:4], v[7:8], off scope:SCOPE_SYS
	s_wait_loadcnt 0x0
	global_atomic_cmpswap_b64 v[8:9], v2, v[3:6], s[2:3] offset:24 th:TH_ATOMIC_RETURN scope:SCOPE_SYS
	s_wait_loadcnt 0x0
	global_inv scope:SCOPE_SYS
	v_cmp_eq_u64_e32 vcc_lo, v[8:9], v[5:6]
	s_wait_alu 0xfffe
	s_or_b32 s5, vcc_lo, s5
	s_wait_alu 0xfffe
	s_and_not1_b32 exec_lo, exec_lo, s5
	s_cbranch_execnz .LBB6_1426
; %bb.1427:
	s_or_b32 exec_lo, exec_lo, s5
.LBB6_1428:
	s_wait_alu 0xfffe
	s_or_b32 exec_lo, exec_lo, s4
.LBB6_1429:
	s_wait_alu 0xfffe
	s_or_b32 exec_lo, exec_lo, s1
	v_readfirstlane_b32 s5, v9
	v_mov_b32_e32 v2, 0
	v_readfirstlane_b32 s4, v8
	s_mov_b32 s1, exec_lo
	s_clause 0x1
	global_load_b64 v[10:11], v2, s[2:3] offset:40
	global_load_b128 v[4:7], v2, s[2:3]
	s_wait_loadcnt 0x1
	s_wait_alu 0xf1ff
	v_and_b32_e32 v11, s5, v11
	v_and_b32_e32 v10, s4, v10
	s_delay_alu instid0(VALU_DEP_2) | instskip(NEXT) | instid1(VALU_DEP_2)
	v_mul_lo_u32 v3, 24, v11
	v_mul_lo_u32 v8, 0, v10
	v_mul_hi_u32 v9, 24, v10
	v_mul_lo_u32 v12, 24, v10
	s_delay_alu instid0(VALU_DEP_3) | instskip(SKIP_1) | instid1(VALU_DEP_2)
	v_add_nc_u32_e32 v3, v3, v8
	s_wait_loadcnt 0x0
	v_add_co_u32 v8, vcc_lo, v4, v12
	s_delay_alu instid0(VALU_DEP_2) | instskip(SKIP_1) | instid1(VALU_DEP_1)
	v_add_nc_u32_e32 v3, v3, v9
	s_wait_alu 0xfffd
	v_add_co_ci_u32_e64 v9, null, v5, v3, vcc_lo
	s_and_saveexec_b32 s6, s0
	s_cbranch_execz .LBB6_1431
; %bb.1430:
	s_wait_alu 0xfffe
	v_dual_mov_b32 v12, s1 :: v_dual_mov_b32 v13, v2
	v_dual_mov_b32 v14, 2 :: v_dual_mov_b32 v15, 1
	global_store_b128 v[8:9], v[12:15], off offset:8
.LBB6_1431:
	s_wait_alu 0xfffe
	s_or_b32 exec_lo, exec_lo, s6
	v_lshlrev_b64_e32 v[10:11], 12, v[10:11]
	s_mov_b32 s8, 0
	v_and_or_b32 v0, 0xffffff1d, v0, 34
	s_wait_alu 0xfffe
	s_mov_b32 s11, s8
	s_mov_b32 s9, s8
	;; [unrolled: 1-line block ×3, first 2 shown]
	v_add_co_u32 v6, vcc_lo, v6, v10
	s_wait_alu 0xfffd
	v_add_co_ci_u32_e64 v7, null, v7, v11, vcc_lo
	v_mov_b32_e32 v3, v2
	s_delay_alu instid0(VALU_DEP_3)
	v_readfirstlane_b32 s6, v6
	s_wait_alu 0xfffe
	v_dual_mov_b32 v13, s11 :: v_dual_mov_b32 v10, s8
	v_readfirstlane_b32 s7, v7
	v_dual_mov_b32 v12, s10 :: v_dual_mov_b32 v11, s9
	s_clause 0x3
	global_store_b128 v30, v[0:3], s[6:7]
	global_store_b128 v30, v[10:13], s[6:7] offset:16
	global_store_b128 v30, v[10:13], s[6:7] offset:32
	;; [unrolled: 1-line block ×3, first 2 shown]
	s_and_saveexec_b32 s1, s0
	s_cbranch_execz .LBB6_1439
; %bb.1432:
	v_mov_b32_e32 v6, 0
	s_mov_b32 s6, exec_lo
	s_clause 0x1
	global_load_b64 v[12:13], v6, s[2:3] offset:32 scope:SCOPE_SYS
	global_load_b64 v[0:1], v6, s[2:3] offset:40
	v_dual_mov_b32 v11, s5 :: v_dual_mov_b32 v10, s4
	s_wait_loadcnt 0x0
	v_and_b32_e32 v1, s5, v1
	v_and_b32_e32 v0, s4, v0
	s_delay_alu instid0(VALU_DEP_2) | instskip(NEXT) | instid1(VALU_DEP_2)
	v_mul_lo_u32 v1, 24, v1
	v_mul_lo_u32 v2, 0, v0
	v_mul_hi_u32 v3, 24, v0
	v_mul_lo_u32 v0, 24, v0
	s_delay_alu instid0(VALU_DEP_3) | instskip(NEXT) | instid1(VALU_DEP_2)
	v_add_nc_u32_e32 v1, v1, v2
	v_add_co_u32 v4, vcc_lo, v4, v0
	s_delay_alu instid0(VALU_DEP_2) | instskip(SKIP_1) | instid1(VALU_DEP_1)
	v_add_nc_u32_e32 v1, v1, v3
	s_wait_alu 0xfffd
	v_add_co_ci_u32_e64 v5, null, v5, v1, vcc_lo
	global_store_b64 v[4:5], v[12:13], off
	global_wb scope:SCOPE_SYS
	s_wait_storecnt 0x0
	global_atomic_cmpswap_b64 v[2:3], v6, v[10:13], s[2:3] offset:32 th:TH_ATOMIC_RETURN scope:SCOPE_SYS
	s_wait_loadcnt 0x0
	v_cmpx_ne_u64_e64 v[2:3], v[12:13]
	s_cbranch_execz .LBB6_1435
; %bb.1433:
	s_mov_b32 s7, 0
.LBB6_1434:                             ; =>This Inner Loop Header: Depth=1
	v_dual_mov_b32 v0, s4 :: v_dual_mov_b32 v1, s5
	s_sleep 1
	global_store_b64 v[4:5], v[2:3], off
	global_wb scope:SCOPE_SYS
	s_wait_storecnt 0x0
	global_atomic_cmpswap_b64 v[0:1], v6, v[0:3], s[2:3] offset:32 th:TH_ATOMIC_RETURN scope:SCOPE_SYS
	s_wait_loadcnt 0x0
	v_cmp_eq_u64_e32 vcc_lo, v[0:1], v[2:3]
	v_dual_mov_b32 v3, v1 :: v_dual_mov_b32 v2, v0
	s_wait_alu 0xfffe
	s_or_b32 s7, vcc_lo, s7
	s_wait_alu 0xfffe
	s_and_not1_b32 exec_lo, exec_lo, s7
	s_cbranch_execnz .LBB6_1434
.LBB6_1435:
	s_wait_alu 0xfffe
	s_or_b32 exec_lo, exec_lo, s6
	v_mov_b32_e32 v3, 0
	s_mov_b32 s7, exec_lo
	s_mov_b32 s6, exec_lo
	s_wait_alu 0xfffe
	v_mbcnt_lo_u32_b32 v2, s7, 0
	global_load_b64 v[0:1], v3, s[2:3] offset:16
	v_cmpx_eq_u32_e32 0, v2
	s_cbranch_execz .LBB6_1437
; %bb.1436:
	s_bcnt1_i32_b32 s7, s7
	s_wait_alu 0xfffe
	v_mov_b32_e32 v2, s7
	global_wb scope:SCOPE_SYS
	s_wait_loadcnt 0x0
	s_wait_storecnt 0x0
	global_atomic_add_u64 v[0:1], v[2:3], off offset:8 scope:SCOPE_SYS
.LBB6_1437:
	s_or_b32 exec_lo, exec_lo, s6
	s_wait_loadcnt 0x0
	global_load_b64 v[2:3], v[0:1], off offset:16
	s_wait_loadcnt 0x0
	v_cmp_eq_u64_e32 vcc_lo, 0, v[2:3]
	s_cbranch_vccnz .LBB6_1439
; %bb.1438:
	global_load_b32 v0, v[0:1], off offset:24
	v_mov_b32_e32 v1, 0
	s_wait_loadcnt 0x0
	v_readfirstlane_b32 s6, v0
	global_wb scope:SCOPE_SYS
	s_wait_storecnt 0x0
	global_store_b64 v[2:3], v[0:1], off scope:SCOPE_SYS
	s_and_b32 m0, s6, 0xffffff
	s_sendmsg sendmsg(MSG_INTERRUPT)
.LBB6_1439:
	s_wait_alu 0xfffe
	s_or_b32 exec_lo, exec_lo, s1
	s_branch .LBB6_1443
.LBB6_1440:                             ;   in Loop: Header=BB6_1443 Depth=1
	s_wait_alu 0xfffe
	s_or_b32 exec_lo, exec_lo, s1
	s_delay_alu instid0(VALU_DEP_1)
	v_readfirstlane_b32 s1, v0
	s_cmp_eq_u32 s1, 0
	s_cbranch_scc1 .LBB6_1442
; %bb.1441:                             ;   in Loop: Header=BB6_1443 Depth=1
	s_sleep 1
	s_cbranch_execnz .LBB6_1443
	s_branch .LBB6_1445
.LBB6_1442:
	s_branch .LBB6_1445
.LBB6_1443:                             ; =>This Inner Loop Header: Depth=1
	v_mov_b32_e32 v0, 1
	s_and_saveexec_b32 s1, s0
	s_cbranch_execz .LBB6_1440
; %bb.1444:                             ;   in Loop: Header=BB6_1443 Depth=1
	global_load_b32 v0, v[8:9], off offset:20 scope:SCOPE_SYS
	s_wait_loadcnt 0x0
	global_inv scope:SCOPE_SYS
	v_and_b32_e32 v0, 1, v0
	s_branch .LBB6_1440
.LBB6_1445:
	s_and_saveexec_b32 s6, s0
	s_cbranch_execz .LBB6_1449
; %bb.1446:
	v_mov_b32_e32 v6, 0
	s_clause 0x2
	global_load_b64 v[0:1], v6, s[2:3] offset:40
	global_load_b64 v[9:10], v6, s[2:3] offset:24 scope:SCOPE_SYS
	global_load_b64 v[2:3], v6, s[2:3]
	s_wait_loadcnt 0x2
	v_readfirstlane_b32 s8, v0
	v_readfirstlane_b32 s9, v1
	s_add_nc_u64 s[0:1], s[8:9], 1
	s_wait_alu 0xfffe
	s_add_nc_u64 s[4:5], s[0:1], s[4:5]
	s_wait_alu 0xfffe
	s_cmp_eq_u64 s[4:5], 0
	s_cselect_b32 s1, s1, s5
	s_cselect_b32 s0, s0, s4
	s_wait_alu 0xfffe
	v_mov_b32_e32 v8, s1
	s_and_b64 s[4:5], s[0:1], s[8:9]
	v_mov_b32_e32 v7, s0
	s_wait_alu 0xfffe
	s_mul_u64 s[4:5], s[4:5], 24
	s_wait_loadcnt 0x0
	s_wait_alu 0xfffe
	v_add_co_u32 v4, vcc_lo, v2, s4
	s_wait_alu 0xfffd
	v_add_co_ci_u32_e64 v5, null, s5, v3, vcc_lo
	global_store_b64 v[4:5], v[9:10], off
	global_wb scope:SCOPE_SYS
	s_wait_storecnt 0x0
	global_atomic_cmpswap_b64 v[2:3], v6, v[7:10], s[2:3] offset:24 th:TH_ATOMIC_RETURN scope:SCOPE_SYS
	s_wait_loadcnt 0x0
	v_cmp_ne_u64_e32 vcc_lo, v[2:3], v[9:10]
	s_and_b32 exec_lo, exec_lo, vcc_lo
	s_cbranch_execz .LBB6_1449
; %bb.1447:
	s_mov_b32 s4, 0
.LBB6_1448:                             ; =>This Inner Loop Header: Depth=1
	v_dual_mov_b32 v0, s0 :: v_dual_mov_b32 v1, s1
	s_sleep 1
	global_store_b64 v[4:5], v[2:3], off
	global_wb scope:SCOPE_SYS
	s_wait_storecnt 0x0
	global_atomic_cmpswap_b64 v[0:1], v6, v[0:3], s[2:3] offset:24 th:TH_ATOMIC_RETURN scope:SCOPE_SYS
	s_wait_loadcnt 0x0
	v_cmp_eq_u64_e32 vcc_lo, v[0:1], v[2:3]
	v_dual_mov_b32 v3, v1 :: v_dual_mov_b32 v2, v0
	s_wait_alu 0xfffe
	s_or_b32 s4, vcc_lo, s4
	s_wait_alu 0xfffe
	s_and_not1_b32 exec_lo, exec_lo, s4
	s_cbranch_execnz .LBB6_1448
.LBB6_1449:
	s_wait_alu 0xfffe
	s_or_b32 exec_lo, exec_lo, s6
.LBB6_1450:
	s_getpc_b64 s[0:1]
	s_wait_alu 0xfffe
	s_sext_i32_i16 s1, s1
	s_add_co_u32 s0, s0, .str.29@rel32@lo+12
	s_wait_alu 0xfffe
	s_add_co_ci_u32 s1, s1, .str.29@rel32@hi+24
	s_getpc_b64 s[2:3]
	s_wait_alu 0xfffe
	s_sext_i32_i16 s3, s3
	s_add_co_u32 s2, s2, .str.19@rel32@lo+12
	s_wait_alu 0xfffe
	s_add_co_ci_u32 s3, s3, .str.19@rel32@hi+24
	s_getpc_b64 s[4:5]
	s_wait_alu 0xfffe
	s_sext_i32_i16 s5, s5
	s_add_co_u32 s4, s4, __PRETTY_FUNCTION__._ZN7VecsMemIjLi8192EE5fetchEi@rel32@lo+12
	s_wait_alu 0xfffe
	s_add_co_ci_u32 s5, s5, __PRETTY_FUNCTION__._ZN7VecsMemIjLi8192EE5fetchEi@rel32@hi+24
	s_wait_loadcnt 0x0
	v_dual_mov_b32 v0, s0 :: v_dual_mov_b32 v1, s1
	v_dual_mov_b32 v2, s2 :: v_dual_mov_b32 v3, s3
	;; [unrolled: 1-line block ×3, first 2 shown]
	s_wait_alu 0xfffe
	v_mov_b32_e32 v6, s5
	s_getpc_b64 s[6:7]
	s_wait_alu 0xfffe
	s_sext_i32_i16 s7, s7
	s_add_co_u32 s6, s6, __assert_fail@rel32@lo+12
	s_wait_alu 0xfffe
	s_add_co_ci_u32 s7, s7, __assert_fail@rel32@hi+24
	s_mov_b64 s[8:9], s[52:53]
	s_wait_alu 0xfffe
	s_swappc_b64 s[30:31], s[6:7]
	s_or_b32 s18, s18, exec_lo
.LBB6_1451:
	s_wait_alu 0xfffe
	s_or_b32 exec_lo, exec_lo, s19
	v_readlane_b32 s0, v59, 0
	s_and_b32 s1, s18, exec_lo
	s_and_b32 s17, s17, exec_lo
	s_and_not1_b32 s0, s0, exec_lo
	s_wait_alu 0xfffe
	s_or_b32 s18, s0, s1
	v_readlane_b32 s0, v59, 21
.LBB6_1452:
	s_wait_alu 0xfffe
	s_delay_alu instid0(VALU_DEP_1)
	s_and_not1_saveexec_b32 s19, s0
	s_cbranch_execz .LBB6_1595
; %bb.1453:
	s_load_b64 s[2:3], s[52:53], 0x50
	v_mbcnt_lo_u32_b32 v31, -1, 0
	v_mov_b32_e32 v6, 0
	v_mov_b32_e32 v7, 0
	s_delay_alu instid0(VALU_DEP_3) | instskip(SKIP_1) | instid1(VALU_DEP_1)
	v_readfirstlane_b32 s0, v31
	s_wait_alu 0xf1ff
	v_cmp_eq_u32_e64 s0, s0, v31
	s_and_saveexec_b32 s1, s0
	s_cbranch_execz .LBB6_1459
; %bb.1454:
	v_mov_b32_e32 v0, 0
	s_mov_b32 s4, exec_lo
	s_wait_kmcnt 0x0
	global_load_b64 v[3:4], v0, s[2:3] offset:24 scope:SCOPE_SYS
	s_wait_loadcnt 0x0
	global_inv scope:SCOPE_SYS
	s_clause 0x1
	global_load_b64 v[1:2], v0, s[2:3] offset:40
	global_load_b64 v[5:6], v0, s[2:3]
	s_wait_loadcnt 0x1
	v_and_b32_e32 v2, v2, v4
	v_and_b32_e32 v1, v1, v3
	s_delay_alu instid0(VALU_DEP_2) | instskip(NEXT) | instid1(VALU_DEP_2)
	v_mul_lo_u32 v2, 24, v2
	v_mul_lo_u32 v7, 0, v1
	v_mul_hi_u32 v8, 24, v1
	v_mul_lo_u32 v1, 24, v1
	s_delay_alu instid0(VALU_DEP_3) | instskip(SKIP_1) | instid1(VALU_DEP_2)
	v_add_nc_u32_e32 v2, v2, v7
	s_wait_loadcnt 0x0
	v_add_co_u32 v1, vcc_lo, v5, v1
	s_delay_alu instid0(VALU_DEP_2) | instskip(SKIP_1) | instid1(VALU_DEP_1)
	v_add_nc_u32_e32 v2, v2, v8
	s_wait_alu 0xfffd
	v_add_co_ci_u32_e64 v2, null, v6, v2, vcc_lo
	global_load_b64 v[1:2], v[1:2], off scope:SCOPE_SYS
	s_wait_loadcnt 0x0
	global_atomic_cmpswap_b64 v[6:7], v0, v[1:4], s[2:3] offset:24 th:TH_ATOMIC_RETURN scope:SCOPE_SYS
	s_wait_loadcnt 0x0
	global_inv scope:SCOPE_SYS
	v_cmpx_ne_u64_e64 v[6:7], v[3:4]
	s_cbranch_execz .LBB6_1458
; %bb.1455:
	s_mov_b32 s5, 0
.LBB6_1456:                             ; =>This Inner Loop Header: Depth=1
	s_sleep 1
	s_clause 0x1
	global_load_b64 v[1:2], v0, s[2:3] offset:40
	global_load_b64 v[8:9], v0, s[2:3]
	v_dual_mov_b32 v3, v6 :: v_dual_mov_b32 v4, v7
	s_wait_loadcnt 0x1
	s_delay_alu instid0(VALU_DEP_1) | instskip(NEXT) | instid1(VALU_DEP_2)
	v_and_b32_e32 v1, v1, v3
	v_and_b32_e32 v2, v2, v4
	s_wait_loadcnt 0x0
	s_delay_alu instid0(VALU_DEP_2) | instskip(NEXT) | instid1(VALU_DEP_1)
	v_mad_co_u64_u32 v[5:6], null, v1, 24, v[8:9]
	v_mov_b32_e32 v1, v6
	s_delay_alu instid0(VALU_DEP_1) | instskip(NEXT) | instid1(VALU_DEP_1)
	v_mad_co_u64_u32 v[1:2], null, v2, 24, v[1:2]
	v_mov_b32_e32 v6, v1
	global_load_b64 v[1:2], v[5:6], off scope:SCOPE_SYS
	s_wait_loadcnt 0x0
	global_atomic_cmpswap_b64 v[6:7], v0, v[1:4], s[2:3] offset:24 th:TH_ATOMIC_RETURN scope:SCOPE_SYS
	s_wait_loadcnt 0x0
	global_inv scope:SCOPE_SYS
	v_cmp_eq_u64_e32 vcc_lo, v[6:7], v[3:4]
	s_wait_alu 0xfffe
	s_or_b32 s5, vcc_lo, s5
	s_wait_alu 0xfffe
	s_and_not1_b32 exec_lo, exec_lo, s5
	s_cbranch_execnz .LBB6_1456
; %bb.1457:
	s_or_b32 exec_lo, exec_lo, s5
.LBB6_1458:
	s_wait_alu 0xfffe
	s_or_b32 exec_lo, exec_lo, s4
.LBB6_1459:
	s_wait_alu 0xfffe
	s_or_b32 exec_lo, exec_lo, s1
	v_readfirstlane_b32 s4, v6
	v_mov_b32_e32 v5, 0
	v_readfirstlane_b32 s5, v7
	s_mov_b32 s1, exec_lo
	s_wait_kmcnt 0x0
	s_clause 0x1
	global_load_b64 v[8:9], v5, s[2:3] offset:40
	global_load_b128 v[0:3], v5, s[2:3]
	s_wait_loadcnt 0x1
	s_wait_alu 0xf1ff
	v_and_b32_e32 v11, s5, v9
	v_and_b32_e32 v10, s4, v8
	s_delay_alu instid0(VALU_DEP_2) | instskip(NEXT) | instid1(VALU_DEP_2)
	v_mul_lo_u32 v4, 24, v11
	v_mul_lo_u32 v6, 0, v10
	v_mul_hi_u32 v7, 24, v10
	v_mul_lo_u32 v8, 24, v10
	s_delay_alu instid0(VALU_DEP_3) | instskip(SKIP_1) | instid1(VALU_DEP_2)
	v_add_nc_u32_e32 v4, v4, v6
	s_wait_loadcnt 0x0
	v_add_co_u32 v8, vcc_lo, v0, v8
	s_delay_alu instid0(VALU_DEP_2) | instskip(SKIP_1) | instid1(VALU_DEP_1)
	v_add_nc_u32_e32 v4, v4, v7
	s_wait_alu 0xfffd
	v_add_co_ci_u32_e64 v9, null, v1, v4, vcc_lo
	s_and_saveexec_b32 s6, s0
	s_cbranch_execz .LBB6_1461
; %bb.1460:
	s_wait_alu 0xfffe
	v_dual_mov_b32 v4, s1 :: v_dual_mov_b32 v7, 1
	v_mov_b32_e32 v6, 2
	global_store_b128 v[8:9], v[4:7], off offset:8
.LBB6_1461:
	s_wait_alu 0xfffe
	s_or_b32 exec_lo, exec_lo, s6
	v_lshlrev_b64_e32 v[10:11], 12, v[10:11]
	v_dual_mov_b32 v7, v5 :: v_dual_lshlrev_b32 v30, 6, v31
	s_mov_b32 s8, 0
	s_wait_alu 0xfffe
	s_mov_b32 s11, s8
	s_delay_alu instid0(VALU_DEP_2)
	v_add_co_u32 v2, vcc_lo, v2, v10
	s_wait_alu 0xfffd
	v_add_co_ci_u32_e64 v3, null, v3, v11, vcc_lo
	s_mov_b32 s9, s8
	v_add_co_u32 v10, vcc_lo, v2, v30
	s_mov_b32 s10, s8
	s_wait_alu 0xfffe
	v_dual_mov_b32 v4, 33 :: v_dual_mov_b32 v15, s11
	v_dual_mov_b32 v6, v5 :: v_dual_mov_b32 v13, s9
	v_readfirstlane_b32 s6, v2
	v_readfirstlane_b32 s7, v3
	s_wait_alu 0xfffd
	v_add_co_ci_u32_e64 v11, null, 0, v3, vcc_lo
	v_mov_b32_e32 v14, s10
	v_mov_b32_e32 v12, s8
	s_clause 0x3
	global_store_b128 v30, v[4:7], s[6:7]
	global_store_b128 v30, v[12:15], s[6:7] offset:16
	global_store_b128 v30, v[12:15], s[6:7] offset:32
	;; [unrolled: 1-line block ×3, first 2 shown]
	s_and_saveexec_b32 s1, s0
	s_cbranch_execz .LBB6_1469
; %bb.1462:
	v_mov_b32_e32 v6, 0
	s_mov_b32 s6, exec_lo
	s_clause 0x1
	global_load_b64 v[14:15], v6, s[2:3] offset:32 scope:SCOPE_SYS
	global_load_b64 v[2:3], v6, s[2:3] offset:40
	v_dual_mov_b32 v13, s5 :: v_dual_mov_b32 v12, s4
	s_wait_loadcnt 0x0
	v_and_b32_e32 v3, s5, v3
	v_and_b32_e32 v2, s4, v2
	s_delay_alu instid0(VALU_DEP_2) | instskip(NEXT) | instid1(VALU_DEP_2)
	v_mul_lo_u32 v3, 24, v3
	v_mul_lo_u32 v4, 0, v2
	v_mul_hi_u32 v5, 24, v2
	v_mul_lo_u32 v2, 24, v2
	s_delay_alu instid0(VALU_DEP_3) | instskip(NEXT) | instid1(VALU_DEP_2)
	v_add_nc_u32_e32 v3, v3, v4
	v_add_co_u32 v4, vcc_lo, v0, v2
	s_delay_alu instid0(VALU_DEP_2) | instskip(SKIP_1) | instid1(VALU_DEP_1)
	v_add_nc_u32_e32 v3, v3, v5
	s_wait_alu 0xfffd
	v_add_co_ci_u32_e64 v5, null, v1, v3, vcc_lo
	global_store_b64 v[4:5], v[14:15], off
	global_wb scope:SCOPE_SYS
	s_wait_storecnt 0x0
	global_atomic_cmpswap_b64 v[2:3], v6, v[12:15], s[2:3] offset:32 th:TH_ATOMIC_RETURN scope:SCOPE_SYS
	s_wait_loadcnt 0x0
	v_cmpx_ne_u64_e64 v[2:3], v[14:15]
	s_cbranch_execz .LBB6_1465
; %bb.1463:
	s_mov_b32 s7, 0
.LBB6_1464:                             ; =>This Inner Loop Header: Depth=1
	v_dual_mov_b32 v0, s4 :: v_dual_mov_b32 v1, s5
	s_sleep 1
	global_store_b64 v[4:5], v[2:3], off
	global_wb scope:SCOPE_SYS
	s_wait_storecnt 0x0
	global_atomic_cmpswap_b64 v[0:1], v6, v[0:3], s[2:3] offset:32 th:TH_ATOMIC_RETURN scope:SCOPE_SYS
	s_wait_loadcnt 0x0
	v_cmp_eq_u64_e32 vcc_lo, v[0:1], v[2:3]
	v_dual_mov_b32 v3, v1 :: v_dual_mov_b32 v2, v0
	s_wait_alu 0xfffe
	s_or_b32 s7, vcc_lo, s7
	s_wait_alu 0xfffe
	s_and_not1_b32 exec_lo, exec_lo, s7
	s_cbranch_execnz .LBB6_1464
.LBB6_1465:
	s_wait_alu 0xfffe
	s_or_b32 exec_lo, exec_lo, s6
	v_mov_b32_e32 v3, 0
	s_mov_b32 s7, exec_lo
	s_mov_b32 s6, exec_lo
	s_wait_alu 0xfffe
	v_mbcnt_lo_u32_b32 v2, s7, 0
	global_load_b64 v[0:1], v3, s[2:3] offset:16
	v_cmpx_eq_u32_e32 0, v2
	s_cbranch_execz .LBB6_1467
; %bb.1466:
	s_bcnt1_i32_b32 s7, s7
	s_wait_alu 0xfffe
	v_mov_b32_e32 v2, s7
	global_wb scope:SCOPE_SYS
	s_wait_loadcnt 0x0
	s_wait_storecnt 0x0
	global_atomic_add_u64 v[0:1], v[2:3], off offset:8 scope:SCOPE_SYS
.LBB6_1467:
	s_or_b32 exec_lo, exec_lo, s6
	s_wait_loadcnt 0x0
	global_load_b64 v[2:3], v[0:1], off offset:16
	s_wait_loadcnt 0x0
	v_cmp_eq_u64_e32 vcc_lo, 0, v[2:3]
	s_cbranch_vccnz .LBB6_1469
; %bb.1468:
	global_load_b32 v0, v[0:1], off offset:24
	v_mov_b32_e32 v1, 0
	s_wait_loadcnt 0x0
	v_readfirstlane_b32 s6, v0
	global_wb scope:SCOPE_SYS
	s_wait_storecnt 0x0
	global_store_b64 v[2:3], v[0:1], off scope:SCOPE_SYS
	s_and_b32 m0, s6, 0xffffff
	s_sendmsg sendmsg(MSG_INTERRUPT)
.LBB6_1469:
	s_wait_alu 0xfffe
	s_or_b32 exec_lo, exec_lo, s1
	s_branch .LBB6_1473
.LBB6_1470:                             ;   in Loop: Header=BB6_1473 Depth=1
	s_wait_alu 0xfffe
	s_or_b32 exec_lo, exec_lo, s1
	s_delay_alu instid0(VALU_DEP_1)
	v_readfirstlane_b32 s1, v0
	s_cmp_eq_u32 s1, 0
	s_cbranch_scc1 .LBB6_1472
; %bb.1471:                             ;   in Loop: Header=BB6_1473 Depth=1
	s_sleep 1
	s_cbranch_execnz .LBB6_1473
	s_branch .LBB6_1475
.LBB6_1472:
	s_branch .LBB6_1475
.LBB6_1473:                             ; =>This Inner Loop Header: Depth=1
	v_mov_b32_e32 v0, 1
	s_and_saveexec_b32 s1, s0
	s_cbranch_execz .LBB6_1470
; %bb.1474:                             ;   in Loop: Header=BB6_1473 Depth=1
	global_load_b32 v0, v[8:9], off offset:20 scope:SCOPE_SYS
	s_wait_loadcnt 0x0
	global_inv scope:SCOPE_SYS
	v_and_b32_e32 v0, 1, v0
	s_branch .LBB6_1470
.LBB6_1475:
	global_load_b64 v[0:1], v[10:11], off
	s_and_saveexec_b32 s6, s0
	s_cbranch_execz .LBB6_1479
; %bb.1476:
	v_mov_b32_e32 v8, 0
	s_clause 0x2
	global_load_b64 v[2:3], v8, s[2:3] offset:40
	global_load_b64 v[11:12], v8, s[2:3] offset:24 scope:SCOPE_SYS
	global_load_b64 v[4:5], v8, s[2:3]
	s_wait_loadcnt 0x2
	v_readfirstlane_b32 s8, v2
	v_readfirstlane_b32 s9, v3
	s_add_nc_u64 s[0:1], s[8:9], 1
	s_wait_alu 0xfffe
	s_add_nc_u64 s[4:5], s[0:1], s[4:5]
	s_wait_alu 0xfffe
	s_cmp_eq_u64 s[4:5], 0
	s_cselect_b32 s1, s1, s5
	s_cselect_b32 s0, s0, s4
	s_wait_alu 0xfffe
	v_mov_b32_e32 v10, s1
	s_and_b64 s[4:5], s[0:1], s[8:9]
	v_mov_b32_e32 v9, s0
	s_wait_alu 0xfffe
	s_mul_u64 s[4:5], s[4:5], 24
	s_wait_loadcnt 0x0
	s_wait_alu 0xfffe
	v_add_co_u32 v6, vcc_lo, v4, s4
	s_wait_alu 0xfffd
	v_add_co_ci_u32_e64 v7, null, s5, v5, vcc_lo
	global_store_b64 v[6:7], v[11:12], off
	global_wb scope:SCOPE_SYS
	s_wait_storecnt 0x0
	global_atomic_cmpswap_b64 v[4:5], v8, v[9:12], s[2:3] offset:24 th:TH_ATOMIC_RETURN scope:SCOPE_SYS
	s_wait_loadcnt 0x0
	v_cmp_ne_u64_e32 vcc_lo, v[4:5], v[11:12]
	s_and_b32 exec_lo, exec_lo, vcc_lo
	s_cbranch_execz .LBB6_1479
; %bb.1477:
	s_mov_b32 s4, 0
.LBB6_1478:                             ; =>This Inner Loop Header: Depth=1
	v_dual_mov_b32 v2, s0 :: v_dual_mov_b32 v3, s1
	s_sleep 1
	global_store_b64 v[6:7], v[4:5], off
	global_wb scope:SCOPE_SYS
	s_wait_storecnt 0x0
	global_atomic_cmpswap_b64 v[2:3], v8, v[2:5], s[2:3] offset:24 th:TH_ATOMIC_RETURN scope:SCOPE_SYS
	s_wait_loadcnt 0x0
	v_cmp_eq_u64_e32 vcc_lo, v[2:3], v[4:5]
	v_dual_mov_b32 v5, v3 :: v_dual_mov_b32 v4, v2
	s_wait_alu 0xfffe
	s_or_b32 s4, vcc_lo, s4
	s_wait_alu 0xfffe
	s_and_not1_b32 exec_lo, exec_lo, s4
	s_cbranch_execnz .LBB6_1478
.LBB6_1479:
	s_wait_alu 0xfffe
	s_or_b32 exec_lo, exec_lo, s6
	s_getpc_b64 s[4:5]
	s_wait_alu 0xfffe
	s_sext_i32_i16 s5, s5
	s_add_co_u32 s4, s4, .str.28@rel32@lo+12
	s_wait_alu 0xfffe
	s_add_co_ci_u32 s5, s5, .str.28@rel32@hi+24
	s_wait_alu 0xfffe
	s_cmp_lg_u64 s[4:5], 0
	s_cbranch_scc0 .LBB6_1565
; %bb.1480:
	s_wait_loadcnt 0x0
	v_dual_mov_b32 v7, v1 :: v_dual_and_b32 v6, -3, v0
	v_dual_mov_b32 v3, 0 :: v_dual_mov_b32 v4, 2
	v_mov_b32_e32 v5, 1
	s_mov_b64 s[6:7], 35
	s_branch .LBB6_1482
.LBB6_1481:                             ;   in Loop: Header=BB6_1482 Depth=1
	s_wait_alu 0xfffe
	s_or_b32 exec_lo, exec_lo, s12
	s_sub_nc_u64 s[6:7], s[6:7], s[8:9]
	s_add_nc_u64 s[4:5], s[4:5], s[8:9]
	s_wait_alu 0xfffe
	s_cmp_lg_u64 s[6:7], 0
	s_cbranch_scc0 .LBB6_1564
.LBB6_1482:                             ; =>This Loop Header: Depth=1
                                        ;     Child Loop BB6_1485 Depth 2
                                        ;     Child Loop BB6_1493 Depth 2
	;; [unrolled: 1-line block ×11, first 2 shown]
	s_wait_alu 0xfffe
	v_cmp_lt_u64_e64 s0, s[6:7], 56
	v_cmp_gt_u64_e64 s1, s[6:7], 7
	s_and_b32 s0, s0, exec_lo
	s_cselect_b32 s9, s7, 0
	s_cselect_b32 s8, s6, 56
	s_and_b32 vcc_lo, exec_lo, s1
	s_wait_alu 0xfffe
	s_cbranch_vccnz .LBB6_1487
; %bb.1483:                             ;   in Loop: Header=BB6_1482 Depth=1
	s_wait_loadcnt 0x0
	v_mov_b32_e32 v8, 0
	v_mov_b32_e32 v9, 0
	s_cmp_eq_u64 s[6:7], 0
	s_cbranch_scc1 .LBB6_1486
; %bb.1484:                             ;   in Loop: Header=BB6_1482 Depth=1
	s_mov_b64 s[0:1], 0
	s_mov_b64 s[10:11], 0
.LBB6_1485:                             ;   Parent Loop BB6_1482 Depth=1
                                        ; =>  This Inner Loop Header: Depth=2
	s_wait_alu 0xfffe
	s_add_nc_u64 s[12:13], s[4:5], s[10:11]
	s_add_nc_u64 s[10:11], s[10:11], 1
	global_load_u8 v2, v3, s[12:13]
	s_wait_alu 0xfffe
	s_cmp_lg_u32 s8, s10
	s_wait_loadcnt 0x0
	v_and_b32_e32 v2, 0xffff, v2
	s_delay_alu instid0(VALU_DEP_1) | instskip(SKIP_1) | instid1(VALU_DEP_1)
	v_lshlrev_b64_e32 v[10:11], s0, v[2:3]
	s_add_nc_u64 s[0:1], s[0:1], 8
	v_or_b32_e32 v8, v10, v8
	s_delay_alu instid0(VALU_DEP_2)
	v_or_b32_e32 v9, v11, v9
	s_cbranch_scc1 .LBB6_1485
.LBB6_1486:                             ;   in Loop: Header=BB6_1482 Depth=1
	s_mov_b32 s0, 0
	s_mov_b64 s[10:11], s[4:5]
	s_branch .LBB6_1488
.LBB6_1487:                             ;   in Loop: Header=BB6_1482 Depth=1
	s_add_nc_u64 s[10:11], s[4:5], 8
	s_mov_b32 s0, -1
.LBB6_1488:                             ;   in Loop: Header=BB6_1482 Depth=1
	s_wait_alu 0xfffe
	s_and_not1_b32 vcc_lo, exec_lo, s0
	s_mov_b32 s14, 0
	s_wait_alu 0xfffe
	s_cbranch_vccnz .LBB6_1490
; %bb.1489:                             ;   in Loop: Header=BB6_1482 Depth=1
	s_wait_loadcnt 0x0
	global_load_b64 v[8:9], v3, s[4:5]
	s_add_co_i32 s14, s8, -8
.LBB6_1490:                             ;   in Loop: Header=BB6_1482 Depth=1
	s_wait_alu 0xfffe
	s_cmp_gt_u32 s14, 7
	s_cbranch_scc1 .LBB6_1495
; %bb.1491:                             ;   in Loop: Header=BB6_1482 Depth=1
	v_mov_b32_e32 v10, 0
	v_mov_b32_e32 v11, 0
	s_cmp_eq_u32 s14, 0
	s_cbranch_scc1 .LBB6_1494
; %bb.1492:                             ;   in Loop: Header=BB6_1482 Depth=1
	s_mov_b64 s[0:1], 0
	s_mov_b64 s[12:13], 0
.LBB6_1493:                             ;   Parent Loop BB6_1482 Depth=1
                                        ; =>  This Inner Loop Header: Depth=2
	s_wait_alu 0xfffe
	s_add_nc_u64 s[20:21], s[10:11], s[12:13]
	s_add_nc_u64 s[12:13], s[12:13], 1
	global_load_u8 v2, v3, s[20:21]
	s_wait_alu 0xfffe
	s_cmp_lg_u32 s14, s12
	s_wait_loadcnt 0x0
	v_and_b32_e32 v2, 0xffff, v2
	s_delay_alu instid0(VALU_DEP_1) | instskip(SKIP_1) | instid1(VALU_DEP_1)
	v_lshlrev_b64_e32 v[12:13], s0, v[2:3]
	s_add_nc_u64 s[0:1], s[0:1], 8
	v_or_b32_e32 v10, v12, v10
	s_delay_alu instid0(VALU_DEP_2)
	v_or_b32_e32 v11, v13, v11
	s_cbranch_scc1 .LBB6_1493
.LBB6_1494:                             ;   in Loop: Header=BB6_1482 Depth=1
	s_mov_b32 s12, 0
	s_mov_b64 s[0:1], s[10:11]
	s_branch .LBB6_1496
.LBB6_1495:                             ;   in Loop: Header=BB6_1482 Depth=1
	s_add_nc_u64 s[0:1], s[10:11], 8
	s_mov_b32 s12, -1
                                        ; implicit-def: $vgpr10_vgpr11
.LBB6_1496:                             ;   in Loop: Header=BB6_1482 Depth=1
	s_wait_alu 0xfffe
	s_and_not1_b32 vcc_lo, exec_lo, s12
	s_mov_b32 s15, 0
	s_wait_alu 0xfffe
	s_cbranch_vccnz .LBB6_1498
; %bb.1497:                             ;   in Loop: Header=BB6_1482 Depth=1
	global_load_b64 v[10:11], v3, s[10:11]
	s_add_co_i32 s15, s14, -8
.LBB6_1498:                             ;   in Loop: Header=BB6_1482 Depth=1
	s_wait_alu 0xfffe
	s_cmp_gt_u32 s15, 7
	s_cbranch_scc1 .LBB6_1503
; %bb.1499:                             ;   in Loop: Header=BB6_1482 Depth=1
	v_mov_b32_e32 v12, 0
	v_mov_b32_e32 v13, 0
	s_cmp_eq_u32 s15, 0
	s_cbranch_scc1 .LBB6_1502
; %bb.1500:                             ;   in Loop: Header=BB6_1482 Depth=1
	s_mov_b64 s[10:11], 0
	s_mov_b64 s[12:13], 0
.LBB6_1501:                             ;   Parent Loop BB6_1482 Depth=1
                                        ; =>  This Inner Loop Header: Depth=2
	s_wait_alu 0xfffe
	s_add_nc_u64 s[20:21], s[0:1], s[12:13]
	s_add_nc_u64 s[12:13], s[12:13], 1
	global_load_u8 v2, v3, s[20:21]
	s_wait_alu 0xfffe
	s_cmp_lg_u32 s15, s12
	s_wait_loadcnt 0x0
	v_and_b32_e32 v2, 0xffff, v2
	s_delay_alu instid0(VALU_DEP_1) | instskip(SKIP_1) | instid1(VALU_DEP_1)
	v_lshlrev_b64_e32 v[14:15], s10, v[2:3]
	s_add_nc_u64 s[10:11], s[10:11], 8
	v_or_b32_e32 v12, v14, v12
	s_delay_alu instid0(VALU_DEP_2)
	v_or_b32_e32 v13, v15, v13
	s_cbranch_scc1 .LBB6_1501
.LBB6_1502:                             ;   in Loop: Header=BB6_1482 Depth=1
	s_mov_b32 s12, 0
	s_mov_b64 s[10:11], s[0:1]
	s_branch .LBB6_1504
.LBB6_1503:                             ;   in Loop: Header=BB6_1482 Depth=1
	s_add_nc_u64 s[10:11], s[0:1], 8
	s_mov_b32 s12, -1
.LBB6_1504:                             ;   in Loop: Header=BB6_1482 Depth=1
	s_wait_alu 0xfffe
	s_and_not1_b32 vcc_lo, exec_lo, s12
	s_mov_b32 s14, 0
	s_wait_alu 0xfffe
	s_cbranch_vccnz .LBB6_1506
; %bb.1505:                             ;   in Loop: Header=BB6_1482 Depth=1
	global_load_b64 v[12:13], v3, s[0:1]
	s_add_co_i32 s14, s15, -8
.LBB6_1506:                             ;   in Loop: Header=BB6_1482 Depth=1
	s_wait_alu 0xfffe
	s_cmp_gt_u32 s14, 7
	s_cbranch_scc1 .LBB6_1511
; %bb.1507:                             ;   in Loop: Header=BB6_1482 Depth=1
	v_mov_b32_e32 v14, 0
	v_mov_b32_e32 v15, 0
	s_cmp_eq_u32 s14, 0
	s_cbranch_scc1 .LBB6_1510
; %bb.1508:                             ;   in Loop: Header=BB6_1482 Depth=1
	s_mov_b64 s[0:1], 0
	s_mov_b64 s[12:13], 0
.LBB6_1509:                             ;   Parent Loop BB6_1482 Depth=1
                                        ; =>  This Inner Loop Header: Depth=2
	s_wait_alu 0xfffe
	s_add_nc_u64 s[20:21], s[10:11], s[12:13]
	s_add_nc_u64 s[12:13], s[12:13], 1
	global_load_u8 v2, v3, s[20:21]
	s_wait_alu 0xfffe
	s_cmp_lg_u32 s14, s12
	s_wait_loadcnt 0x0
	v_and_b32_e32 v2, 0xffff, v2
	s_delay_alu instid0(VALU_DEP_1) | instskip(SKIP_1) | instid1(VALU_DEP_1)
	v_lshlrev_b64_e32 v[16:17], s0, v[2:3]
	s_add_nc_u64 s[0:1], s[0:1], 8
	v_or_b32_e32 v14, v16, v14
	s_delay_alu instid0(VALU_DEP_2)
	v_or_b32_e32 v15, v17, v15
	s_cbranch_scc1 .LBB6_1509
.LBB6_1510:                             ;   in Loop: Header=BB6_1482 Depth=1
	s_mov_b32 s12, 0
	s_mov_b64 s[0:1], s[10:11]
	s_branch .LBB6_1512
.LBB6_1511:                             ;   in Loop: Header=BB6_1482 Depth=1
	s_add_nc_u64 s[0:1], s[10:11], 8
	s_mov_b32 s12, -1
                                        ; implicit-def: $vgpr14_vgpr15
.LBB6_1512:                             ;   in Loop: Header=BB6_1482 Depth=1
	s_wait_alu 0xfffe
	s_and_not1_b32 vcc_lo, exec_lo, s12
	s_mov_b32 s15, 0
	s_wait_alu 0xfffe
	s_cbranch_vccnz .LBB6_1514
; %bb.1513:                             ;   in Loop: Header=BB6_1482 Depth=1
	global_load_b64 v[14:15], v3, s[10:11]
	s_add_co_i32 s15, s14, -8
.LBB6_1514:                             ;   in Loop: Header=BB6_1482 Depth=1
	s_wait_alu 0xfffe
	s_cmp_gt_u32 s15, 7
	s_cbranch_scc1 .LBB6_1519
; %bb.1515:                             ;   in Loop: Header=BB6_1482 Depth=1
	v_mov_b32_e32 v16, 0
	v_mov_b32_e32 v17, 0
	s_cmp_eq_u32 s15, 0
	s_cbranch_scc1 .LBB6_1518
; %bb.1516:                             ;   in Loop: Header=BB6_1482 Depth=1
	s_mov_b64 s[10:11], 0
	s_mov_b64 s[12:13], 0
.LBB6_1517:                             ;   Parent Loop BB6_1482 Depth=1
                                        ; =>  This Inner Loop Header: Depth=2
	s_wait_alu 0xfffe
	s_add_nc_u64 s[20:21], s[0:1], s[12:13]
	s_add_nc_u64 s[12:13], s[12:13], 1
	global_load_u8 v2, v3, s[20:21]
	s_wait_alu 0xfffe
	s_cmp_lg_u32 s15, s12
	s_wait_loadcnt 0x0
	v_and_b32_e32 v2, 0xffff, v2
	s_delay_alu instid0(VALU_DEP_1) | instskip(SKIP_1) | instid1(VALU_DEP_1)
	v_lshlrev_b64_e32 v[18:19], s10, v[2:3]
	s_add_nc_u64 s[10:11], s[10:11], 8
	v_or_b32_e32 v16, v18, v16
	s_delay_alu instid0(VALU_DEP_2)
	v_or_b32_e32 v17, v19, v17
	s_cbranch_scc1 .LBB6_1517
.LBB6_1518:                             ;   in Loop: Header=BB6_1482 Depth=1
	s_mov_b32 s12, 0
	s_mov_b64 s[10:11], s[0:1]
	s_branch .LBB6_1520
.LBB6_1519:                             ;   in Loop: Header=BB6_1482 Depth=1
	s_add_nc_u64 s[10:11], s[0:1], 8
	s_mov_b32 s12, -1
.LBB6_1520:                             ;   in Loop: Header=BB6_1482 Depth=1
	s_wait_alu 0xfffe
	s_and_not1_b32 vcc_lo, exec_lo, s12
	s_mov_b32 s14, 0
	s_wait_alu 0xfffe
	s_cbranch_vccnz .LBB6_1522
; %bb.1521:                             ;   in Loop: Header=BB6_1482 Depth=1
	global_load_b64 v[16:17], v3, s[0:1]
	s_add_co_i32 s14, s15, -8
.LBB6_1522:                             ;   in Loop: Header=BB6_1482 Depth=1
	s_wait_alu 0xfffe
	s_cmp_gt_u32 s14, 7
	s_cbranch_scc1 .LBB6_1527
; %bb.1523:                             ;   in Loop: Header=BB6_1482 Depth=1
	v_mov_b32_e32 v18, 0
	v_mov_b32_e32 v19, 0
	s_cmp_eq_u32 s14, 0
	s_cbranch_scc1 .LBB6_1526
; %bb.1524:                             ;   in Loop: Header=BB6_1482 Depth=1
	s_mov_b64 s[0:1], 0
	s_mov_b64 s[12:13], 0
.LBB6_1525:                             ;   Parent Loop BB6_1482 Depth=1
                                        ; =>  This Inner Loop Header: Depth=2
	s_wait_alu 0xfffe
	s_add_nc_u64 s[20:21], s[10:11], s[12:13]
	s_add_nc_u64 s[12:13], s[12:13], 1
	global_load_u8 v2, v3, s[20:21]
	s_wait_alu 0xfffe
	s_cmp_lg_u32 s14, s12
	s_wait_loadcnt 0x0
	v_and_b32_e32 v2, 0xffff, v2
	s_delay_alu instid0(VALU_DEP_1) | instskip(SKIP_1) | instid1(VALU_DEP_1)
	v_lshlrev_b64_e32 v[20:21], s0, v[2:3]
	s_add_nc_u64 s[0:1], s[0:1], 8
	v_or_b32_e32 v18, v20, v18
	s_delay_alu instid0(VALU_DEP_2)
	v_or_b32_e32 v19, v21, v19
	s_cbranch_scc1 .LBB6_1525
.LBB6_1526:                             ;   in Loop: Header=BB6_1482 Depth=1
	s_mov_b32 s12, 0
	s_mov_b64 s[0:1], s[10:11]
	s_branch .LBB6_1528
.LBB6_1527:                             ;   in Loop: Header=BB6_1482 Depth=1
	s_add_nc_u64 s[0:1], s[10:11], 8
	s_mov_b32 s12, -1
                                        ; implicit-def: $vgpr18_vgpr19
.LBB6_1528:                             ;   in Loop: Header=BB6_1482 Depth=1
	s_wait_alu 0xfffe
	s_and_not1_b32 vcc_lo, exec_lo, s12
	s_mov_b32 s15, 0
	s_wait_alu 0xfffe
	s_cbranch_vccnz .LBB6_1530
; %bb.1529:                             ;   in Loop: Header=BB6_1482 Depth=1
	global_load_b64 v[18:19], v3, s[10:11]
	s_add_co_i32 s15, s14, -8
.LBB6_1530:                             ;   in Loop: Header=BB6_1482 Depth=1
	s_wait_alu 0xfffe
	s_cmp_gt_u32 s15, 7
	s_cbranch_scc1 .LBB6_1535
; %bb.1531:                             ;   in Loop: Header=BB6_1482 Depth=1
	v_mov_b32_e32 v20, 0
	v_mov_b32_e32 v21, 0
	s_cmp_eq_u32 s15, 0
	s_cbranch_scc1 .LBB6_1534
; %bb.1532:                             ;   in Loop: Header=BB6_1482 Depth=1
	s_mov_b64 s[10:11], 0
	s_mov_b64 s[12:13], s[0:1]
.LBB6_1533:                             ;   Parent Loop BB6_1482 Depth=1
                                        ; =>  This Inner Loop Header: Depth=2
	global_load_u8 v2, v3, s[12:13]
	s_add_co_i32 s15, s15, -1
	s_wait_alu 0xfffe
	s_add_nc_u64 s[12:13], s[12:13], 1
	s_cmp_lg_u32 s15, 0
	s_wait_loadcnt 0x0
	v_and_b32_e32 v2, 0xffff, v2
	s_delay_alu instid0(VALU_DEP_1) | instskip(SKIP_1) | instid1(VALU_DEP_1)
	v_lshlrev_b64_e32 v[22:23], s10, v[2:3]
	s_add_nc_u64 s[10:11], s[10:11], 8
	v_or_b32_e32 v20, v22, v20
	s_delay_alu instid0(VALU_DEP_2)
	v_or_b32_e32 v21, v23, v21
	s_cbranch_scc1 .LBB6_1533
.LBB6_1534:                             ;   in Loop: Header=BB6_1482 Depth=1
	s_mov_b32 s10, 0
	s_branch .LBB6_1536
.LBB6_1535:                             ;   in Loop: Header=BB6_1482 Depth=1
	s_mov_b32 s10, -1
.LBB6_1536:                             ;   in Loop: Header=BB6_1482 Depth=1
	s_wait_alu 0xfffe
	s_and_not1_b32 vcc_lo, exec_lo, s10
	s_wait_alu 0xfffe
	s_cbranch_vccnz .LBB6_1538
; %bb.1537:                             ;   in Loop: Header=BB6_1482 Depth=1
	global_load_b64 v[20:21], v3, s[0:1]
.LBB6_1538:                             ;   in Loop: Header=BB6_1482 Depth=1
	v_readfirstlane_b32 s0, v31
	v_mov_b32_e32 v26, 0
	v_mov_b32_e32 v27, 0
	s_wait_alu 0xf1ff
	s_delay_alu instid0(VALU_DEP_3)
	v_cmp_eq_u32_e64 s0, s0, v31
	s_and_saveexec_b32 s1, s0
	s_cbranch_execz .LBB6_1544
; %bb.1539:                             ;   in Loop: Header=BB6_1482 Depth=1
	global_load_b64 v[24:25], v3, s[2:3] offset:24 scope:SCOPE_SYS
	s_wait_loadcnt 0x0
	global_inv scope:SCOPE_SYS
	s_clause 0x1
	global_load_b64 v[22:23], v3, s[2:3] offset:40
	global_load_b64 v[26:27], v3, s[2:3]
	s_mov_b32 s10, exec_lo
	s_wait_loadcnt 0x1
	v_and_b32_e32 v2, v23, v25
	v_and_b32_e32 v22, v22, v24
	s_delay_alu instid0(VALU_DEP_2) | instskip(NEXT) | instid1(VALU_DEP_2)
	v_mul_lo_u32 v2, 24, v2
	v_mul_lo_u32 v23, 0, v22
	v_mul_hi_u32 v28, 24, v22
	v_mul_lo_u32 v22, 24, v22
	s_delay_alu instid0(VALU_DEP_3) | instskip(SKIP_1) | instid1(VALU_DEP_2)
	v_add_nc_u32_e32 v2, v2, v23
	s_wait_loadcnt 0x0
	v_add_co_u32 v22, vcc_lo, v26, v22
	s_delay_alu instid0(VALU_DEP_2) | instskip(SKIP_1) | instid1(VALU_DEP_1)
	v_add_nc_u32_e32 v2, v2, v28
	s_wait_alu 0xfffd
	v_add_co_ci_u32_e64 v23, null, v27, v2, vcc_lo
	global_load_b64 v[22:23], v[22:23], off scope:SCOPE_SYS
	s_wait_loadcnt 0x0
	global_atomic_cmpswap_b64 v[26:27], v3, v[22:25], s[2:3] offset:24 th:TH_ATOMIC_RETURN scope:SCOPE_SYS
	s_wait_loadcnt 0x0
	global_inv scope:SCOPE_SYS
	v_cmpx_ne_u64_e64 v[26:27], v[24:25]
	s_cbranch_execz .LBB6_1543
; %bb.1540:                             ;   in Loop: Header=BB6_1482 Depth=1
	s_mov_b32 s11, 0
.LBB6_1541:                             ;   Parent Loop BB6_1482 Depth=1
                                        ; =>  This Inner Loop Header: Depth=2
	s_sleep 1
	s_clause 0x1
	global_load_b64 v[22:23], v3, s[2:3] offset:40
	global_load_b64 v[28:29], v3, s[2:3]
	v_dual_mov_b32 v24, v26 :: v_dual_mov_b32 v25, v27
	s_wait_loadcnt 0x1
	s_delay_alu instid0(VALU_DEP_1) | instskip(NEXT) | instid1(VALU_DEP_2)
	v_and_b32_e32 v2, v22, v24
	v_and_b32_e32 v22, v23, v25
	s_wait_loadcnt 0x0
	s_delay_alu instid0(VALU_DEP_2) | instskip(NEXT) | instid1(VALU_DEP_1)
	v_mad_co_u64_u32 v[26:27], null, v2, 24, v[28:29]
	v_mov_b32_e32 v2, v27
	s_delay_alu instid0(VALU_DEP_1) | instskip(NEXT) | instid1(VALU_DEP_1)
	v_mad_co_u64_u32 v[22:23], null, v22, 24, v[2:3]
	v_mov_b32_e32 v27, v22
	global_load_b64 v[22:23], v[26:27], off scope:SCOPE_SYS
	s_wait_loadcnt 0x0
	global_atomic_cmpswap_b64 v[26:27], v3, v[22:25], s[2:3] offset:24 th:TH_ATOMIC_RETURN scope:SCOPE_SYS
	s_wait_loadcnt 0x0
	global_inv scope:SCOPE_SYS
	v_cmp_eq_u64_e32 vcc_lo, v[26:27], v[24:25]
	s_wait_alu 0xfffe
	s_or_b32 s11, vcc_lo, s11
	s_wait_alu 0xfffe
	s_and_not1_b32 exec_lo, exec_lo, s11
	s_cbranch_execnz .LBB6_1541
; %bb.1542:                             ;   in Loop: Header=BB6_1482 Depth=1
	s_or_b32 exec_lo, exec_lo, s11
.LBB6_1543:                             ;   in Loop: Header=BB6_1482 Depth=1
	s_wait_alu 0xfffe
	s_or_b32 exec_lo, exec_lo, s10
.LBB6_1544:                             ;   in Loop: Header=BB6_1482 Depth=1
	s_wait_alu 0xfffe
	s_or_b32 exec_lo, exec_lo, s1
	s_clause 0x1
	global_load_b64 v[28:29], v3, s[2:3] offset:40
	global_load_b128 v[22:25], v3, s[2:3]
	v_readfirstlane_b32 s11, v27
	v_readfirstlane_b32 s10, v26
	s_mov_b32 s1, exec_lo
	s_wait_loadcnt 0x1
	s_wait_alu 0xf1ff
	v_and_b32_e32 v29, s11, v29
	v_and_b32_e32 v28, s10, v28
	s_delay_alu instid0(VALU_DEP_2) | instskip(NEXT) | instid1(VALU_DEP_2)
	v_mul_lo_u32 v2, 24, v29
	v_mul_lo_u32 v26, 0, v28
	v_mul_hi_u32 v27, 24, v28
	v_mul_lo_u32 v32, 24, v28
	s_delay_alu instid0(VALU_DEP_3) | instskip(SKIP_1) | instid1(VALU_DEP_2)
	v_add_nc_u32_e32 v2, v2, v26
	s_wait_loadcnt 0x0
	v_add_co_u32 v26, vcc_lo, v22, v32
	s_delay_alu instid0(VALU_DEP_2) | instskip(SKIP_1) | instid1(VALU_DEP_1)
	v_add_nc_u32_e32 v2, v2, v27
	s_wait_alu 0xfffd
	v_add_co_ci_u32_e64 v27, null, v23, v2, vcc_lo
	s_and_saveexec_b32 s12, s0
	s_cbranch_execz .LBB6_1546
; %bb.1545:                             ;   in Loop: Header=BB6_1482 Depth=1
	s_wait_alu 0xfffe
	v_mov_b32_e32 v2, s1
	global_store_b128 v[26:27], v[2:5], off offset:8
.LBB6_1546:                             ;   in Loop: Header=BB6_1482 Depth=1
	s_wait_alu 0xfffe
	s_or_b32 exec_lo, exec_lo, s12
	v_cmp_gt_u64_e64 s1, s[6:7], 56
	v_lshlrev_b64_e32 v[28:29], 12, v[28:29]
	v_and_b32_e32 v2, 0xffffff1f, v6
	s_and_b32 s1, s1, exec_lo
	s_delay_alu instid0(VALU_DEP_2)
	v_add_co_u32 v24, vcc_lo, v24, v28
	s_cselect_b32 s1, 0, 2
	s_wait_alu 0xfffd
	v_add_co_ci_u32_e64 v25, null, v25, v29, vcc_lo
	s_wait_alu 0xfffe
	v_or_b32_e32 v2, s1, v2
	s_lshl_b32 s12, s8, 2
	s_wait_alu 0xfffe
	s_add_co_i32 s1, s12, 28
	v_readfirstlane_b32 s12, v24
	v_readfirstlane_b32 s13, v25
	s_wait_alu 0xfffe
	v_and_or_b32 v6, 0x1e0, s1, v2
	s_clause 0x3
	global_store_b128 v30, v[6:9], s[12:13]
	global_store_b128 v30, v[10:13], s[12:13] offset:16
	global_store_b128 v30, v[14:17], s[12:13] offset:32
	global_store_b128 v30, v[18:21], s[12:13] offset:48
	s_and_saveexec_b32 s1, s0
	s_cbranch_execz .LBB6_1554
; %bb.1547:                             ;   in Loop: Header=BB6_1482 Depth=1
	s_clause 0x1
	global_load_b64 v[14:15], v3, s[2:3] offset:32 scope:SCOPE_SYS
	global_load_b64 v[6:7], v3, s[2:3] offset:40
	v_mov_b32_e32 v12, s10
	s_mov_b32 s12, exec_lo
	s_wait_loadcnt 0x0
	v_dual_mov_b32 v13, s11 :: v_dual_and_b32 v2, s11, v7
	v_and_b32_e32 v6, s10, v6
	s_delay_alu instid0(VALU_DEP_2) | instskip(NEXT) | instid1(VALU_DEP_2)
	v_mul_lo_u32 v2, 24, v2
	v_mul_lo_u32 v7, 0, v6
	v_mul_hi_u32 v8, 24, v6
	v_mul_lo_u32 v6, 24, v6
	s_delay_alu instid0(VALU_DEP_3) | instskip(NEXT) | instid1(VALU_DEP_2)
	v_add_nc_u32_e32 v2, v2, v7
	v_add_co_u32 v10, vcc_lo, v22, v6
	s_delay_alu instid0(VALU_DEP_2) | instskip(SKIP_1) | instid1(VALU_DEP_1)
	v_add_nc_u32_e32 v2, v2, v8
	s_wait_alu 0xfffd
	v_add_co_ci_u32_e64 v11, null, v23, v2, vcc_lo
	global_store_b64 v[10:11], v[14:15], off
	global_wb scope:SCOPE_SYS
	s_wait_storecnt 0x0
	global_atomic_cmpswap_b64 v[8:9], v3, v[12:15], s[2:3] offset:32 th:TH_ATOMIC_RETURN scope:SCOPE_SYS
	s_wait_loadcnt 0x0
	v_cmpx_ne_u64_e64 v[8:9], v[14:15]
	s_cbranch_execz .LBB6_1550
; %bb.1548:                             ;   in Loop: Header=BB6_1482 Depth=1
	s_mov_b32 s13, 0
.LBB6_1549:                             ;   Parent Loop BB6_1482 Depth=1
                                        ; =>  This Inner Loop Header: Depth=2
	v_dual_mov_b32 v6, s10 :: v_dual_mov_b32 v7, s11
	s_sleep 1
	global_store_b64 v[10:11], v[8:9], off
	global_wb scope:SCOPE_SYS
	s_wait_storecnt 0x0
	global_atomic_cmpswap_b64 v[6:7], v3, v[6:9], s[2:3] offset:32 th:TH_ATOMIC_RETURN scope:SCOPE_SYS
	s_wait_loadcnt 0x0
	v_cmp_eq_u64_e32 vcc_lo, v[6:7], v[8:9]
	v_dual_mov_b32 v9, v7 :: v_dual_mov_b32 v8, v6
	s_wait_alu 0xfffe
	s_or_b32 s13, vcc_lo, s13
	s_wait_alu 0xfffe
	s_and_not1_b32 exec_lo, exec_lo, s13
	s_cbranch_execnz .LBB6_1549
.LBB6_1550:                             ;   in Loop: Header=BB6_1482 Depth=1
	s_wait_alu 0xfffe
	s_or_b32 exec_lo, exec_lo, s12
	global_load_b64 v[6:7], v3, s[2:3] offset:16
	s_mov_b32 s13, exec_lo
	s_mov_b32 s12, exec_lo
	s_wait_alu 0xfffe
	v_mbcnt_lo_u32_b32 v2, s13, 0
	s_delay_alu instid0(VALU_DEP_1)
	v_cmpx_eq_u32_e32 0, v2
	s_cbranch_execz .LBB6_1552
; %bb.1551:                             ;   in Loop: Header=BB6_1482 Depth=1
	s_bcnt1_i32_b32 s13, s13
	s_wait_alu 0xfffe
	v_mov_b32_e32 v2, s13
	global_wb scope:SCOPE_SYS
	s_wait_loadcnt 0x0
	s_wait_storecnt 0x0
	global_atomic_add_u64 v[6:7], v[2:3], off offset:8 scope:SCOPE_SYS
.LBB6_1552:                             ;   in Loop: Header=BB6_1482 Depth=1
	s_or_b32 exec_lo, exec_lo, s12
	s_wait_loadcnt 0x0
	global_load_b64 v[8:9], v[6:7], off offset:16
	s_wait_loadcnt 0x0
	v_cmp_eq_u64_e32 vcc_lo, 0, v[8:9]
	s_cbranch_vccnz .LBB6_1554
; %bb.1553:                             ;   in Loop: Header=BB6_1482 Depth=1
	global_load_b32 v2, v[6:7], off offset:24
	s_wait_loadcnt 0x0
	v_readfirstlane_b32 s12, v2
	global_wb scope:SCOPE_SYS
	s_wait_storecnt 0x0
	global_store_b64 v[8:9], v[2:3], off scope:SCOPE_SYS
	s_and_b32 m0, s12, 0xffffff
	s_sendmsg sendmsg(MSG_INTERRUPT)
.LBB6_1554:                             ;   in Loop: Header=BB6_1482 Depth=1
	s_wait_alu 0xfffe
	s_or_b32 exec_lo, exec_lo, s1
	v_add_co_u32 v6, vcc_lo, v24, v30
	s_wait_alu 0xfffd
	v_add_co_ci_u32_e64 v7, null, 0, v25, vcc_lo
	s_branch .LBB6_1558
.LBB6_1555:                             ;   in Loop: Header=BB6_1558 Depth=2
	s_wait_alu 0xfffe
	s_or_b32 exec_lo, exec_lo, s1
	s_delay_alu instid0(VALU_DEP_1)
	v_readfirstlane_b32 s1, v2
	s_cmp_eq_u32 s1, 0
	s_cbranch_scc1 .LBB6_1557
; %bb.1556:                             ;   in Loop: Header=BB6_1558 Depth=2
	s_sleep 1
	s_cbranch_execnz .LBB6_1558
	s_branch .LBB6_1560
.LBB6_1557:                             ;   in Loop: Header=BB6_1482 Depth=1
	s_branch .LBB6_1560
.LBB6_1558:                             ;   Parent Loop BB6_1482 Depth=1
                                        ; =>  This Inner Loop Header: Depth=2
	v_mov_b32_e32 v2, 1
	s_and_saveexec_b32 s1, s0
	s_cbranch_execz .LBB6_1555
; %bb.1559:                             ;   in Loop: Header=BB6_1558 Depth=2
	global_load_b32 v2, v[26:27], off offset:20 scope:SCOPE_SYS
	s_wait_loadcnt 0x0
	global_inv scope:SCOPE_SYS
	v_and_b32_e32 v2, 1, v2
	s_branch .LBB6_1555
.LBB6_1560:                             ;   in Loop: Header=BB6_1482 Depth=1
	global_load_b128 v[6:9], v[6:7], off
	s_and_saveexec_b32 s12, s0
	s_cbranch_execz .LBB6_1481
; %bb.1561:                             ;   in Loop: Header=BB6_1482 Depth=1
	s_wait_loadcnt 0x0
	s_clause 0x2
	global_load_b64 v[8:9], v3, s[2:3] offset:40
	global_load_b64 v[16:17], v3, s[2:3] offset:24 scope:SCOPE_SYS
	global_load_b64 v[10:11], v3, s[2:3]
	s_wait_loadcnt 0x2
	v_readfirstlane_b32 s14, v8
	v_readfirstlane_b32 s15, v9
	s_add_nc_u64 s[0:1], s[14:15], 1
	s_wait_alu 0xfffe
	s_add_nc_u64 s[10:11], s[0:1], s[10:11]
	s_wait_alu 0xfffe
	s_cmp_eq_u64 s[10:11], 0
	s_cselect_b32 s1, s1, s11
	s_cselect_b32 s0, s0, s10
	s_wait_alu 0xfffe
	v_dual_mov_b32 v15, s1 :: v_dual_mov_b32 v14, s0
	s_and_b64 s[10:11], s[0:1], s[14:15]
	s_wait_alu 0xfffe
	s_mul_u64 s[10:11], s[10:11], 24
	s_wait_loadcnt 0x0
	s_wait_alu 0xfffe
	v_add_co_u32 v12, vcc_lo, v10, s10
	s_wait_alu 0xfffd
	v_add_co_ci_u32_e64 v13, null, s11, v11, vcc_lo
	global_store_b64 v[12:13], v[16:17], off
	global_wb scope:SCOPE_SYS
	s_wait_storecnt 0x0
	global_atomic_cmpswap_b64 v[10:11], v3, v[14:17], s[2:3] offset:24 th:TH_ATOMIC_RETURN scope:SCOPE_SYS
	s_wait_loadcnt 0x0
	v_cmp_ne_u64_e32 vcc_lo, v[10:11], v[16:17]
	s_and_b32 exec_lo, exec_lo, vcc_lo
	s_cbranch_execz .LBB6_1481
; %bb.1562:                             ;   in Loop: Header=BB6_1482 Depth=1
	s_mov_b32 s10, 0
.LBB6_1563:                             ;   Parent Loop BB6_1482 Depth=1
                                        ; =>  This Inner Loop Header: Depth=2
	v_dual_mov_b32 v8, s0 :: v_dual_mov_b32 v9, s1
	s_sleep 1
	global_store_b64 v[12:13], v[10:11], off
	global_wb scope:SCOPE_SYS
	s_wait_storecnt 0x0
	global_atomic_cmpswap_b64 v[8:9], v3, v[8:11], s[2:3] offset:24 th:TH_ATOMIC_RETURN scope:SCOPE_SYS
	s_wait_loadcnt 0x0
	v_cmp_eq_u64_e32 vcc_lo, v[8:9], v[10:11]
	v_dual_mov_b32 v11, v9 :: v_dual_mov_b32 v10, v8
	s_wait_alu 0xfffe
	s_or_b32 s10, vcc_lo, s10
	s_wait_alu 0xfffe
	s_and_not1_b32 exec_lo, exec_lo, s10
	s_cbranch_execnz .LBB6_1563
	s_branch .LBB6_1481
.LBB6_1564:
	s_mov_b32 s0, 0
	s_branch .LBB6_1566
.LBB6_1565:
	s_mov_b32 s0, -1
.LBB6_1566:
	s_wait_alu 0xfffe
	s_and_b32 vcc_lo, exec_lo, s0
	s_wait_alu 0xfffe
	s_cbranch_vccz .LBB6_1594
; %bb.1567:
	v_readfirstlane_b32 s0, v31
	s_wait_loadcnt 0x0
	v_mov_b32_e32 v8, 0
	v_mov_b32_e32 v9, 0
	s_wait_alu 0xf1ff
	v_cmp_eq_u32_e64 s0, s0, v31
	s_and_saveexec_b32 s1, s0
	s_cbranch_execz .LBB6_1573
; %bb.1568:
	v_mov_b32_e32 v2, 0
	s_mov_b32 s4, exec_lo
	global_load_b64 v[5:6], v2, s[2:3] offset:24 scope:SCOPE_SYS
	s_wait_loadcnt 0x0
	global_inv scope:SCOPE_SYS
	s_clause 0x1
	global_load_b64 v[3:4], v2, s[2:3] offset:40
	global_load_b64 v[7:8], v2, s[2:3]
	s_wait_loadcnt 0x1
	v_and_b32_e32 v4, v4, v6
	v_and_b32_e32 v3, v3, v5
	s_delay_alu instid0(VALU_DEP_2) | instskip(NEXT) | instid1(VALU_DEP_2)
	v_mul_lo_u32 v4, 24, v4
	v_mul_lo_u32 v9, 0, v3
	v_mul_hi_u32 v10, 24, v3
	v_mul_lo_u32 v3, 24, v3
	s_delay_alu instid0(VALU_DEP_3) | instskip(SKIP_1) | instid1(VALU_DEP_2)
	v_add_nc_u32_e32 v4, v4, v9
	s_wait_loadcnt 0x0
	v_add_co_u32 v3, vcc_lo, v7, v3
	s_delay_alu instid0(VALU_DEP_2) | instskip(SKIP_1) | instid1(VALU_DEP_1)
	v_add_nc_u32_e32 v4, v4, v10
	s_wait_alu 0xfffd
	v_add_co_ci_u32_e64 v4, null, v8, v4, vcc_lo
	global_load_b64 v[3:4], v[3:4], off scope:SCOPE_SYS
	s_wait_loadcnt 0x0
	global_atomic_cmpswap_b64 v[8:9], v2, v[3:6], s[2:3] offset:24 th:TH_ATOMIC_RETURN scope:SCOPE_SYS
	s_wait_loadcnt 0x0
	global_inv scope:SCOPE_SYS
	v_cmpx_ne_u64_e64 v[8:9], v[5:6]
	s_cbranch_execz .LBB6_1572
; %bb.1569:
	s_mov_b32 s5, 0
.LBB6_1570:                             ; =>This Inner Loop Header: Depth=1
	s_sleep 1
	s_clause 0x1
	global_load_b64 v[3:4], v2, s[2:3] offset:40
	global_load_b64 v[10:11], v2, s[2:3]
	v_dual_mov_b32 v5, v8 :: v_dual_mov_b32 v6, v9
	s_wait_loadcnt 0x1
	s_delay_alu instid0(VALU_DEP_1) | instskip(NEXT) | instid1(VALU_DEP_2)
	v_and_b32_e32 v3, v3, v5
	v_and_b32_e32 v4, v4, v6
	s_wait_loadcnt 0x0
	s_delay_alu instid0(VALU_DEP_2) | instskip(NEXT) | instid1(VALU_DEP_1)
	v_mad_co_u64_u32 v[7:8], null, v3, 24, v[10:11]
	v_mov_b32_e32 v3, v8
	s_delay_alu instid0(VALU_DEP_1) | instskip(NEXT) | instid1(VALU_DEP_1)
	v_mad_co_u64_u32 v[3:4], null, v4, 24, v[3:4]
	v_mov_b32_e32 v8, v3
	global_load_b64 v[3:4], v[7:8], off scope:SCOPE_SYS
	s_wait_loadcnt 0x0
	global_atomic_cmpswap_b64 v[8:9], v2, v[3:6], s[2:3] offset:24 th:TH_ATOMIC_RETURN scope:SCOPE_SYS
	s_wait_loadcnt 0x0
	global_inv scope:SCOPE_SYS
	v_cmp_eq_u64_e32 vcc_lo, v[8:9], v[5:6]
	s_wait_alu 0xfffe
	s_or_b32 s5, vcc_lo, s5
	s_wait_alu 0xfffe
	s_and_not1_b32 exec_lo, exec_lo, s5
	s_cbranch_execnz .LBB6_1570
; %bb.1571:
	s_or_b32 exec_lo, exec_lo, s5
.LBB6_1572:
	s_wait_alu 0xfffe
	s_or_b32 exec_lo, exec_lo, s4
.LBB6_1573:
	s_wait_alu 0xfffe
	s_or_b32 exec_lo, exec_lo, s1
	v_readfirstlane_b32 s5, v9
	v_mov_b32_e32 v2, 0
	v_readfirstlane_b32 s4, v8
	s_mov_b32 s1, exec_lo
	s_clause 0x1
	global_load_b64 v[10:11], v2, s[2:3] offset:40
	global_load_b128 v[4:7], v2, s[2:3]
	s_wait_loadcnt 0x1
	s_wait_alu 0xf1ff
	v_and_b32_e32 v11, s5, v11
	v_and_b32_e32 v10, s4, v10
	s_delay_alu instid0(VALU_DEP_2) | instskip(NEXT) | instid1(VALU_DEP_2)
	v_mul_lo_u32 v3, 24, v11
	v_mul_lo_u32 v8, 0, v10
	v_mul_hi_u32 v9, 24, v10
	v_mul_lo_u32 v12, 24, v10
	s_delay_alu instid0(VALU_DEP_3) | instskip(SKIP_1) | instid1(VALU_DEP_2)
	v_add_nc_u32_e32 v3, v3, v8
	s_wait_loadcnt 0x0
	v_add_co_u32 v8, vcc_lo, v4, v12
	s_delay_alu instid0(VALU_DEP_2) | instskip(SKIP_1) | instid1(VALU_DEP_1)
	v_add_nc_u32_e32 v3, v3, v9
	s_wait_alu 0xfffd
	v_add_co_ci_u32_e64 v9, null, v5, v3, vcc_lo
	s_and_saveexec_b32 s6, s0
	s_cbranch_execz .LBB6_1575
; %bb.1574:
	s_wait_alu 0xfffe
	v_dual_mov_b32 v12, s1 :: v_dual_mov_b32 v13, v2
	v_dual_mov_b32 v14, 2 :: v_dual_mov_b32 v15, 1
	global_store_b128 v[8:9], v[12:15], off offset:8
.LBB6_1575:
	s_wait_alu 0xfffe
	s_or_b32 exec_lo, exec_lo, s6
	v_lshlrev_b64_e32 v[10:11], 12, v[10:11]
	s_mov_b32 s8, 0
	v_and_or_b32 v0, 0xffffff1d, v0, 34
	s_wait_alu 0xfffe
	s_mov_b32 s11, s8
	s_mov_b32 s9, s8
	;; [unrolled: 1-line block ×3, first 2 shown]
	v_add_co_u32 v6, vcc_lo, v6, v10
	s_wait_alu 0xfffd
	v_add_co_ci_u32_e64 v7, null, v7, v11, vcc_lo
	v_mov_b32_e32 v3, v2
	s_delay_alu instid0(VALU_DEP_3)
	v_readfirstlane_b32 s6, v6
	s_wait_alu 0xfffe
	v_dual_mov_b32 v13, s11 :: v_dual_mov_b32 v10, s8
	v_readfirstlane_b32 s7, v7
	v_dual_mov_b32 v12, s10 :: v_dual_mov_b32 v11, s9
	s_clause 0x3
	global_store_b128 v30, v[0:3], s[6:7]
	global_store_b128 v30, v[10:13], s[6:7] offset:16
	global_store_b128 v30, v[10:13], s[6:7] offset:32
	;; [unrolled: 1-line block ×3, first 2 shown]
	s_and_saveexec_b32 s1, s0
	s_cbranch_execz .LBB6_1583
; %bb.1576:
	v_mov_b32_e32 v6, 0
	s_mov_b32 s6, exec_lo
	s_clause 0x1
	global_load_b64 v[12:13], v6, s[2:3] offset:32 scope:SCOPE_SYS
	global_load_b64 v[0:1], v6, s[2:3] offset:40
	v_dual_mov_b32 v11, s5 :: v_dual_mov_b32 v10, s4
	s_wait_loadcnt 0x0
	v_and_b32_e32 v1, s5, v1
	v_and_b32_e32 v0, s4, v0
	s_delay_alu instid0(VALU_DEP_2) | instskip(NEXT) | instid1(VALU_DEP_2)
	v_mul_lo_u32 v1, 24, v1
	v_mul_lo_u32 v2, 0, v0
	v_mul_hi_u32 v3, 24, v0
	v_mul_lo_u32 v0, 24, v0
	s_delay_alu instid0(VALU_DEP_3) | instskip(NEXT) | instid1(VALU_DEP_2)
	v_add_nc_u32_e32 v1, v1, v2
	v_add_co_u32 v4, vcc_lo, v4, v0
	s_delay_alu instid0(VALU_DEP_2) | instskip(SKIP_1) | instid1(VALU_DEP_1)
	v_add_nc_u32_e32 v1, v1, v3
	s_wait_alu 0xfffd
	v_add_co_ci_u32_e64 v5, null, v5, v1, vcc_lo
	global_store_b64 v[4:5], v[12:13], off
	global_wb scope:SCOPE_SYS
	s_wait_storecnt 0x0
	global_atomic_cmpswap_b64 v[2:3], v6, v[10:13], s[2:3] offset:32 th:TH_ATOMIC_RETURN scope:SCOPE_SYS
	s_wait_loadcnt 0x0
	v_cmpx_ne_u64_e64 v[2:3], v[12:13]
	s_cbranch_execz .LBB6_1579
; %bb.1577:
	s_mov_b32 s7, 0
.LBB6_1578:                             ; =>This Inner Loop Header: Depth=1
	v_dual_mov_b32 v0, s4 :: v_dual_mov_b32 v1, s5
	s_sleep 1
	global_store_b64 v[4:5], v[2:3], off
	global_wb scope:SCOPE_SYS
	s_wait_storecnt 0x0
	global_atomic_cmpswap_b64 v[0:1], v6, v[0:3], s[2:3] offset:32 th:TH_ATOMIC_RETURN scope:SCOPE_SYS
	s_wait_loadcnt 0x0
	v_cmp_eq_u64_e32 vcc_lo, v[0:1], v[2:3]
	v_dual_mov_b32 v3, v1 :: v_dual_mov_b32 v2, v0
	s_wait_alu 0xfffe
	s_or_b32 s7, vcc_lo, s7
	s_wait_alu 0xfffe
	s_and_not1_b32 exec_lo, exec_lo, s7
	s_cbranch_execnz .LBB6_1578
.LBB6_1579:
	s_wait_alu 0xfffe
	s_or_b32 exec_lo, exec_lo, s6
	v_mov_b32_e32 v3, 0
	s_mov_b32 s7, exec_lo
	s_mov_b32 s6, exec_lo
	s_wait_alu 0xfffe
	v_mbcnt_lo_u32_b32 v2, s7, 0
	global_load_b64 v[0:1], v3, s[2:3] offset:16
	v_cmpx_eq_u32_e32 0, v2
	s_cbranch_execz .LBB6_1581
; %bb.1580:
	s_bcnt1_i32_b32 s7, s7
	s_wait_alu 0xfffe
	v_mov_b32_e32 v2, s7
	global_wb scope:SCOPE_SYS
	s_wait_loadcnt 0x0
	s_wait_storecnt 0x0
	global_atomic_add_u64 v[0:1], v[2:3], off offset:8 scope:SCOPE_SYS
.LBB6_1581:
	s_or_b32 exec_lo, exec_lo, s6
	s_wait_loadcnt 0x0
	global_load_b64 v[2:3], v[0:1], off offset:16
	s_wait_loadcnt 0x0
	v_cmp_eq_u64_e32 vcc_lo, 0, v[2:3]
	s_cbranch_vccnz .LBB6_1583
; %bb.1582:
	global_load_b32 v0, v[0:1], off offset:24
	v_mov_b32_e32 v1, 0
	s_wait_loadcnt 0x0
	v_readfirstlane_b32 s6, v0
	global_wb scope:SCOPE_SYS
	s_wait_storecnt 0x0
	global_store_b64 v[2:3], v[0:1], off scope:SCOPE_SYS
	s_and_b32 m0, s6, 0xffffff
	s_sendmsg sendmsg(MSG_INTERRUPT)
.LBB6_1583:
	s_wait_alu 0xfffe
	s_or_b32 exec_lo, exec_lo, s1
	s_branch .LBB6_1587
.LBB6_1584:                             ;   in Loop: Header=BB6_1587 Depth=1
	s_wait_alu 0xfffe
	s_or_b32 exec_lo, exec_lo, s1
	s_delay_alu instid0(VALU_DEP_1)
	v_readfirstlane_b32 s1, v0
	s_cmp_eq_u32 s1, 0
	s_cbranch_scc1 .LBB6_1586
; %bb.1585:                             ;   in Loop: Header=BB6_1587 Depth=1
	s_sleep 1
	s_cbranch_execnz .LBB6_1587
	s_branch .LBB6_1589
.LBB6_1586:
	s_branch .LBB6_1589
.LBB6_1587:                             ; =>This Inner Loop Header: Depth=1
	v_mov_b32_e32 v0, 1
	s_and_saveexec_b32 s1, s0
	s_cbranch_execz .LBB6_1584
; %bb.1588:                             ;   in Loop: Header=BB6_1587 Depth=1
	global_load_b32 v0, v[8:9], off offset:20 scope:SCOPE_SYS
	s_wait_loadcnt 0x0
	global_inv scope:SCOPE_SYS
	v_and_b32_e32 v0, 1, v0
	s_branch .LBB6_1584
.LBB6_1589:
	s_and_saveexec_b32 s6, s0
	s_cbranch_execz .LBB6_1593
; %bb.1590:
	v_mov_b32_e32 v6, 0
	s_clause 0x2
	global_load_b64 v[0:1], v6, s[2:3] offset:40
	global_load_b64 v[9:10], v6, s[2:3] offset:24 scope:SCOPE_SYS
	global_load_b64 v[2:3], v6, s[2:3]
	s_wait_loadcnt 0x2
	v_readfirstlane_b32 s8, v0
	v_readfirstlane_b32 s9, v1
	s_add_nc_u64 s[0:1], s[8:9], 1
	s_wait_alu 0xfffe
	s_add_nc_u64 s[4:5], s[0:1], s[4:5]
	s_wait_alu 0xfffe
	s_cmp_eq_u64 s[4:5], 0
	s_cselect_b32 s1, s1, s5
	s_cselect_b32 s0, s0, s4
	s_wait_alu 0xfffe
	v_mov_b32_e32 v8, s1
	s_and_b64 s[4:5], s[0:1], s[8:9]
	v_mov_b32_e32 v7, s0
	s_wait_alu 0xfffe
	s_mul_u64 s[4:5], s[4:5], 24
	s_wait_loadcnt 0x0
	s_wait_alu 0xfffe
	v_add_co_u32 v4, vcc_lo, v2, s4
	s_wait_alu 0xfffd
	v_add_co_ci_u32_e64 v5, null, s5, v3, vcc_lo
	global_store_b64 v[4:5], v[9:10], off
	global_wb scope:SCOPE_SYS
	s_wait_storecnt 0x0
	global_atomic_cmpswap_b64 v[2:3], v6, v[7:10], s[2:3] offset:24 th:TH_ATOMIC_RETURN scope:SCOPE_SYS
	s_wait_loadcnt 0x0
	v_cmp_ne_u64_e32 vcc_lo, v[2:3], v[9:10]
	s_and_b32 exec_lo, exec_lo, vcc_lo
	s_cbranch_execz .LBB6_1593
; %bb.1591:
	s_mov_b32 s4, 0
.LBB6_1592:                             ; =>This Inner Loop Header: Depth=1
	v_dual_mov_b32 v0, s0 :: v_dual_mov_b32 v1, s1
	s_sleep 1
	global_store_b64 v[4:5], v[2:3], off
	global_wb scope:SCOPE_SYS
	s_wait_storecnt 0x0
	global_atomic_cmpswap_b64 v[0:1], v6, v[0:3], s[2:3] offset:24 th:TH_ATOMIC_RETURN scope:SCOPE_SYS
	s_wait_loadcnt 0x0
	v_cmp_eq_u64_e32 vcc_lo, v[0:1], v[2:3]
	v_dual_mov_b32 v3, v1 :: v_dual_mov_b32 v2, v0
	s_wait_alu 0xfffe
	s_or_b32 s4, vcc_lo, s4
	s_wait_alu 0xfffe
	s_and_not1_b32 exec_lo, exec_lo, s4
	s_cbranch_execnz .LBB6_1592
.LBB6_1593:
	s_wait_alu 0xfffe
	s_or_b32 exec_lo, exec_lo, s6
.LBB6_1594:
	s_getpc_b64 s[0:1]
	s_wait_alu 0xfffe
	s_sext_i32_i16 s1, s1
	s_add_co_u32 s0, s0, .str.29@rel32@lo+12
	s_wait_alu 0xfffe
	s_add_co_ci_u32 s1, s1, .str.29@rel32@hi+24
	s_getpc_b64 s[2:3]
	s_wait_alu 0xfffe
	s_sext_i32_i16 s3, s3
	s_add_co_u32 s2, s2, .str.19@rel32@lo+12
	s_wait_alu 0xfffe
	s_add_co_ci_u32 s3, s3, .str.19@rel32@hi+24
	s_getpc_b64 s[4:5]
	s_wait_alu 0xfffe
	s_sext_i32_i16 s5, s5
	s_add_co_u32 s4, s4, __PRETTY_FUNCTION__._ZN7VecsMemIjLi8192EE5fetchEi@rel32@lo+12
	s_wait_alu 0xfffe
	s_add_co_ci_u32 s5, s5, __PRETTY_FUNCTION__._ZN7VecsMemIjLi8192EE5fetchEi@rel32@hi+24
	s_wait_loadcnt 0x0
	v_dual_mov_b32 v0, s0 :: v_dual_mov_b32 v1, s1
	v_dual_mov_b32 v2, s2 :: v_dual_mov_b32 v3, s3
	;; [unrolled: 1-line block ×3, first 2 shown]
	s_wait_alu 0xfffe
	v_mov_b32_e32 v6, s5
	s_getpc_b64 s[6:7]
	s_wait_alu 0xfffe
	s_sext_i32_i16 s7, s7
	s_add_co_u32 s6, s6, __assert_fail@rel32@lo+12
	s_wait_alu 0xfffe
	s_add_co_ci_u32 s7, s7, __assert_fail@rel32@hi+24
	s_mov_b64 s[8:9], s[52:53]
	s_wait_alu 0xfffe
	s_swappc_b64 s[30:31], s[6:7]
	s_or_b32 s18, s18, exec_lo
.LBB6_1595:
	s_wait_alu 0xfffe
	s_or_b32 exec_lo, exec_lo, s19
	v_readlane_b32 s1, v59, 0
	s_and_b32 s2, s18, exec_lo
	s_and_b32 s36, s17, exec_lo
	v_readlane_b32 s28, v59, 20
	v_readlane_b32 s20, v59, 10
	s_and_not1_b32 s0, s1, exec_lo
	v_readlane_b32 s21, v59, 9
	s_wait_alu 0xfffe
	s_or_b32 s34, s0, s2
	v_readlane_b32 s22, v59, 8
	v_readlane_b32 s18, v59, 7
	;; [unrolled: 1-line block ×16, first 2 shown]
	s_mov_b32 s29, 0
                                        ; implicit-def: $vgpr44
                                        ; implicit-def: $vgpr42
                                        ; implicit-def: $vgpr47
                                        ; implicit-def: $vgpr71
.LBB6_1596:
	s_wait_alu 0xfffe
	s_and_not1_saveexec_b32 s0, s0
	s_cbranch_execz .LBB6_1806
; %bb.1597:
	s_getpc_b64 s[50:51]
	s_wait_alu 0xfffe
	s_sext_i32_i16 s51, s51
	s_add_co_u32 s50, s50, _ZN3sop12sopFactorRecEPNS_3SopEiP7VecsMemIjLi8192EEPN8subgUtil4SubgILi256EEE@rel32@lo+12
	s_wait_alu 0xfffe
	s_add_co_ci_u32 s51, s51, _ZN3sop12sopFactorRecEPNS_3SopEiP7VecsMemIjLi8192EEPN8subgUtil4SubgILi256EEE@rel32@hi+24
	v_writelane_b32 v59, s0, 10
	s_mov_b64 s[38:39], src_private_base
	s_add_co_i32 s0, s33, 0x68
	s_wait_alu 0xfffe
	v_dual_mov_b32 v57, v71 :: v_dual_mov_b32 v0, s0
	v_dual_mov_b32 v1, s39 :: v_dual_mov_b32 v2, v47
	;; [unrolled: 1-line block ×4, first 2 shown]
	s_mov_b64 s[8:9], s[52:53]
	v_writelane_b32 v59, s43, 18
	s_mov_b32 s70, s27
	s_mov_b32 s69, s26
	;; [unrolled: 1-line block ×5, first 2 shown]
	s_wait_alu 0xfffe
	s_swappc_b64 s[30:31], s[50:51]
	s_add_co_i32 s0, s33, 0x78
	v_dual_mov_b32 v40, v0 :: v_dual_mov_b32 v1, s39
	s_wait_alu 0xfffe
	v_dual_mov_b32 v0, s0 :: v_dual_mov_b32 v3, v44
	v_dual_mov_b32 v2, v47 :: v_dual_mov_b32 v5, v42
	v_mov_b32_e32 v4, v45
	v_mov_b32_e32 v6, v43
	s_mov_b64 s[8:9], s[52:53]
	s_wait_alu 0xfffe
	s_swappc_b64 s[30:31], s[50:51]
	flat_load_b32 v1, v[42:43]
	s_mov_b32 s0, s34
	s_mov_b32 s1, exec_lo
	s_wait_loadcnt_dscnt 0x0
	v_cmpx_lt_i32_e32 0xff, v1
	s_wait_alu 0xfffe
	s_xor_b32 s17, exec_lo, s1
	s_cbranch_execz .LBB6_1599
; %bb.1598:
	s_getpc_b64 s[0:1]
	s_wait_alu 0xfffe
	s_sext_i32_i16 s1, s1
	s_add_co_u32 s0, s0, .str.43@rel32@lo+12
	s_wait_alu 0xfffe
	s_add_co_ci_u32 s1, s1, .str.43@rel32@hi+24
	s_getpc_b64 s[2:3]
	s_wait_alu 0xfffe
	s_sext_i32_i16 s3, s3
	s_add_co_u32 s2, s2, .str.44@rel32@lo+12
	s_wait_alu 0xfffe
	s_add_co_ci_u32 s3, s3, .str.44@rel32@hi+24
	s_getpc_b64 s[4:5]
	s_wait_alu 0xfffe
	s_sext_i32_i16 s5, s5
	s_add_co_u32 s4, s4, __PRETTY_FUNCTION__._ZN8subgUtil4SubgILi256EE10addNodeAndEii@rel32@lo+12
	s_wait_alu 0xfffe
	s_add_co_ci_u32 s5, s5, __PRETTY_FUNCTION__._ZN8subgUtil4SubgILi256EE10addNodeAndEii@rel32@hi+24
	v_dual_mov_b32 v0, s0 :: v_dual_mov_b32 v1, s1
	v_dual_mov_b32 v2, s2 :: v_dual_mov_b32 v3, s3
	;; [unrolled: 1-line block ×3, first 2 shown]
	s_wait_alu 0xfffe
	v_mov_b32_e32 v6, s5
	s_getpc_b64 s[6:7]
	s_wait_alu 0xfffe
	s_sext_i32_i16 s7, s7
	s_add_co_u32 s6, s6, __assert_fail@rel32@lo+12
	s_wait_alu 0xfffe
	s_add_co_ci_u32 s7, s7, __assert_fail@rel32@hi+24
	s_mov_b64 s[8:9], s[52:53]
	s_wait_alu 0xfffe
	s_swappc_b64 s[30:31], s[6:7]
	s_or_b32 s0, s34, exec_lo
                                        ; implicit-def: $vgpr1
                                        ; implicit-def: $vgpr40
                                        ; implicit-def: $vgpr0
                                        ; implicit-def: $vgpr44
                                        ; implicit-def: $vgpr42
                                        ; implicit-def: $vgpr47
                                        ; implicit-def: $vgpr57
.LBB6_1599:
	s_wait_alu 0xfffe
	s_or_saveexec_b32 s35, s17
	s_mov_b32 s1, s36
                                        ; implicit-def: $vgpr41
	s_wait_alu 0xfffe
	s_xor_b32 exec_lo, exec_lo, s35
	s_cbranch_execz .LBB6_1805
; %bb.1600:
	v_writelane_b32 v59, s34, 5
	v_or_b32_e32 v2, v0, v40
	s_mov_b32 s1, -1
	s_mov_b32 s17, s36
	s_mov_b32 s34, s0
	;; [unrolled: 1-line block ×3, first 2 shown]
	v_writelane_b32 v59, s36, 7
                                        ; implicit-def: $vgpr41
	s_mov_b32 s0, exec_lo
	v_cmpx_lt_i32_e32 -1, v2
	s_wait_alu 0xfffe
	s_xor_b32 s36, exec_lo, s0
	s_cbranch_execz .LBB6_1802
; %bb.1601:
	v_ashrrev_i32_e32 v2, 31, v1
	v_max_i32_e32 v4, v40, v0
	v_min_i32_e32 v5, v40, v0
	v_add_nc_u32_e32 v0, 1, v1
	v_lshlrev_b32_e32 v41, 1, v1
	v_lshlrev_b64_e32 v[2:3], 3, v[1:2]
	v_lshlrev_b32_e32 v4, 1, v4
	s_mov_b32 s0, s34
	s_mov_b32 s37, exec_lo
	s_delay_alu instid0(VALU_DEP_2)
	v_add_co_u32 v2, vcc_lo, v42, v2
	s_wait_alu 0xfffd
	v_add_co_ci_u32_e64 v3, null, v43, v3, vcc_lo
	s_clause 0x1
	flat_store_b32 v[42:43], v0
	flat_store_b64 v[2:3], v[4:5] offset:8
	v_cmpx_ne_u32_e64 v56, v57
	s_cbranch_execz .LBB6_1801
; %bb.1602:
	s_mov_b64 s[0:1], src_private_base
	s_getpc_b64 s[2:3]
	s_wait_alu 0xfffe
	s_sext_i32_i16 s3, s3
	s_add_co_u32 s2, s2, _ZN3sop12sopFactorRecEPNS_3SopEiP7VecsMemIjLi8192EEPN8subgUtil4SubgILi256EEE@rel32@lo+12
	s_wait_alu 0xfffe
	s_add_co_ci_u32 s3, s3, _ZN3sop12sopFactorRecEPNS_3SopEiP7VecsMemIjLi8192EEPN8subgUtil4SubgILi256EEE@rel32@hi+24
	s_add_co_i32 s0, s33, 0x88
	s_wait_alu 0xfffe
	v_dual_mov_b32 v1, s1 :: v_dual_mov_b32 v0, s0
	v_dual_mov_b32 v2, v47 :: v_dual_mov_b32 v3, v44
	;; [unrolled: 1-line block ×3, first 2 shown]
	v_mov_b32_e32 v6, v43
	s_mov_b64 s[8:9], s[52:53]
	s_wait_alu 0xfffe
	s_swappc_b64 s[30:31], s[2:3]
	flat_load_b32 v1, v[42:43]
	s_mov_b32 s17, s34
	s_mov_b32 s0, exec_lo
	s_wait_loadcnt_dscnt 0x0
	v_cmpx_lt_i32_e32 0xff, v1
	s_wait_alu 0xfffe
	s_xor_b32 s18, exec_lo, s0
	s_cbranch_execz .LBB6_1604
; %bb.1603:
	s_getpc_b64 s[0:1]
	s_wait_alu 0xfffe
	s_sext_i32_i16 s1, s1
	s_add_co_u32 s0, s0, .str.43@rel32@lo+12
	s_wait_alu 0xfffe
	s_add_co_ci_u32 s1, s1, .str.43@rel32@hi+24
	s_getpc_b64 s[2:3]
	s_wait_alu 0xfffe
	s_sext_i32_i16 s3, s3
	s_add_co_u32 s2, s2, .str.44@rel32@lo+12
	s_wait_alu 0xfffe
	s_add_co_ci_u32 s3, s3, .str.44@rel32@hi+24
	s_getpc_b64 s[4:5]
	s_wait_alu 0xfffe
	s_sext_i32_i16 s5, s5
	s_add_co_u32 s4, s4, __PRETTY_FUNCTION__._ZN8subgUtil4SubgILi256EE9addNodeOrEii@rel32@lo+12
	s_wait_alu 0xfffe
	s_add_co_ci_u32 s5, s5, __PRETTY_FUNCTION__._ZN8subgUtil4SubgILi256EE9addNodeOrEii@rel32@hi+24
	v_dual_mov_b32 v0, s0 :: v_dual_mov_b32 v1, s1
	v_dual_mov_b32 v2, s2 :: v_dual_mov_b32 v3, s3
	;; [unrolled: 1-line block ×3, first 2 shown]
	s_wait_alu 0xfffe
	v_mov_b32_e32 v6, s5
	s_getpc_b64 s[6:7]
	s_wait_alu 0xfffe
	s_sext_i32_i16 s7, s7
	s_add_co_u32 s6, s6, __assert_fail@rel32@lo+12
	s_wait_alu 0xfffe
	s_add_co_ci_u32 s7, s7, __assert_fail@rel32@hi+24
	s_mov_b64 s[8:9], s[52:53]
	s_wait_alu 0xfffe
	s_swappc_b64 s[30:31], s[6:7]
	s_or_b32 s17, s34, exec_lo
                                        ; implicit-def: $vgpr0
                                        ; implicit-def: $vgpr41
                                        ; implicit-def: $vgpr42_vgpr43
.LBB6_1604:
	s_wait_alu 0xfffe
	s_or_saveexec_b32 s18, s18
	s_mov_b32 s1, 0
	s_wait_alu 0xfffe
	s_xor_b32 exec_lo, exec_lo, s18
	s_cbranch_execz .LBB6_1800
; %bb.1605:
	v_min_i32_e32 v36, v41, v0
	v_max_i32_e32 v3, v41, v0
	s_delay_alu instid0(VALU_DEP_2) | instskip(NEXT) | instid1(VALU_DEP_2)
	v_xor_b32_e32 v30, 1, v36
	v_xor_b32_e32 v33, 1, v3
	s_delay_alu instid0(VALU_DEP_1)
	v_cmp_gt_i32_e64 s0, v30, v33
	s_and_saveexec_b32 s16, s0
	s_cbranch_execz .LBB6_1795
; %bb.1606:
	s_load_b64 s[2:3], s[52:53], 0x50
	v_mbcnt_lo_u32_b32 v35, -1, 0
	v_mov_b32_e32 v1, 0
	v_mov_b32_e32 v2, 0
	s_delay_alu instid0(VALU_DEP_3) | instskip(SKIP_1) | instid1(VALU_DEP_1)
	v_readfirstlane_b32 s1, v35
	s_wait_alu 0xf1ff
	v_cmp_eq_u32_e64 s1, s1, v35
	s_and_saveexec_b32 s4, s1
	s_cbranch_execz .LBB6_1612
; %bb.1607:
	v_mov_b32_e32 v4, 0
	s_mov_b32 s5, exec_lo
	s_wait_kmcnt 0x0
	global_load_b64 v[7:8], v4, s[2:3] offset:24 scope:SCOPE_SYS
	s_wait_loadcnt 0x0
	global_inv scope:SCOPE_SYS
	s_clause 0x1
	global_load_b64 v[1:2], v4, s[2:3] offset:40
	global_load_b64 v[5:6], v4, s[2:3]
	s_wait_loadcnt 0x1
	v_and_b32_e32 v2, v2, v8
	v_and_b32_e32 v1, v1, v7
	s_delay_alu instid0(VALU_DEP_2) | instskip(NEXT) | instid1(VALU_DEP_2)
	v_mul_lo_u32 v2, 24, v2
	v_mul_lo_u32 v9, 0, v1
	v_mul_hi_u32 v10, 24, v1
	v_mul_lo_u32 v1, 24, v1
	s_delay_alu instid0(VALU_DEP_3) | instskip(SKIP_1) | instid1(VALU_DEP_2)
	v_add_nc_u32_e32 v2, v2, v9
	s_wait_loadcnt 0x0
	v_add_co_u32 v1, vcc_lo, v5, v1
	s_delay_alu instid0(VALU_DEP_2) | instskip(SKIP_1) | instid1(VALU_DEP_1)
	v_add_nc_u32_e32 v2, v2, v10
	s_wait_alu 0xfffd
	v_add_co_ci_u32_e64 v2, null, v6, v2, vcc_lo
	global_load_b64 v[5:6], v[1:2], off scope:SCOPE_SYS
	s_wait_loadcnt 0x0
	global_atomic_cmpswap_b64 v[1:2], v4, v[5:8], s[2:3] offset:24 th:TH_ATOMIC_RETURN scope:SCOPE_SYS
	s_wait_loadcnt 0x0
	global_inv scope:SCOPE_SYS
	v_cmpx_ne_u64_e64 v[1:2], v[7:8]
	s_cbranch_execz .LBB6_1611
; %bb.1608:
	s_mov_b32 s6, 0
.LBB6_1609:                             ; =>This Inner Loop Header: Depth=1
	s_sleep 1
	s_clause 0x1
	global_load_b64 v[5:6], v4, s[2:3] offset:40
	global_load_b64 v[9:10], v4, s[2:3]
	v_dual_mov_b32 v8, v2 :: v_dual_mov_b32 v7, v1
	s_wait_loadcnt 0x1
	s_delay_alu instid0(VALU_DEP_1) | instskip(NEXT) | instid1(VALU_DEP_2)
	v_and_b32_e32 v1, v5, v7
	v_and_b32_e32 v5, v6, v8
	s_wait_loadcnt 0x0
	s_delay_alu instid0(VALU_DEP_2) | instskip(NEXT) | instid1(VALU_DEP_1)
	v_mad_co_u64_u32 v[1:2], null, v1, 24, v[9:10]
	v_mad_co_u64_u32 v[5:6], null, v5, 24, v[2:3]
	s_delay_alu instid0(VALU_DEP_1)
	v_mov_b32_e32 v2, v5
	global_load_b64 v[5:6], v[1:2], off scope:SCOPE_SYS
	s_wait_loadcnt 0x0
	global_atomic_cmpswap_b64 v[1:2], v4, v[5:8], s[2:3] offset:24 th:TH_ATOMIC_RETURN scope:SCOPE_SYS
	s_wait_loadcnt 0x0
	global_inv scope:SCOPE_SYS
	v_cmp_eq_u64_e32 vcc_lo, v[1:2], v[7:8]
	s_wait_alu 0xfffe
	s_or_b32 s6, vcc_lo, s6
	s_wait_alu 0xfffe
	s_and_not1_b32 exec_lo, exec_lo, s6
	s_cbranch_execnz .LBB6_1609
; %bb.1610:
	s_or_b32 exec_lo, exec_lo, s6
.LBB6_1611:
	s_wait_alu 0xfffe
	s_or_b32 exec_lo, exec_lo, s5
.LBB6_1612:
	s_wait_alu 0xfffe
	s_or_b32 exec_lo, exec_lo, s4
	v_readfirstlane_b32 s4, v1
	v_mov_b32_e32 v9, 0
	v_readfirstlane_b32 s5, v2
	s_mov_b32 s6, exec_lo
	s_wait_kmcnt 0x0
	s_clause 0x1
	global_load_b64 v[10:11], v9, s[2:3] offset:40
	global_load_b128 v[4:7], v9, s[2:3]
	s_wait_loadcnt 0x1
	s_wait_alu 0xf1ff
	v_and_b32_e32 v13, s5, v11
	v_and_b32_e32 v12, s4, v10
	s_delay_alu instid0(VALU_DEP_2) | instskip(NEXT) | instid1(VALU_DEP_2)
	v_mul_lo_u32 v1, 24, v13
	v_mul_lo_u32 v2, 0, v12
	v_mul_hi_u32 v8, 24, v12
	v_mul_lo_u32 v10, 24, v12
	s_delay_alu instid0(VALU_DEP_3) | instskip(NEXT) | instid1(VALU_DEP_1)
	v_add_nc_u32_e32 v1, v1, v2
	v_add_nc_u32_e32 v2, v1, v8
	s_wait_loadcnt 0x0
	s_delay_alu instid0(VALU_DEP_3) | instskip(SKIP_1) | instid1(VALU_DEP_2)
	v_add_co_u32 v1, vcc_lo, v4, v10
	s_wait_alu 0xfffd
	v_add_co_ci_u32_e64 v2, null, v5, v2, vcc_lo
	s_and_saveexec_b32 s7, s1
	s_cbranch_execz .LBB6_1614
; %bb.1613:
	s_wait_alu 0xfffe
	v_dual_mov_b32 v8, s6 :: v_dual_mov_b32 v11, 1
	v_mov_b32_e32 v10, 2
	global_store_b128 v[1:2], v[8:11], off offset:8
.LBB6_1614:
	s_wait_alu 0xfffe
	s_or_b32 exec_lo, exec_lo, s7
	v_lshlrev_b64_e32 v[11:12], 12, v[12:13]
	v_lshlrev_b32_e32 v34, 6, v35
	s_mov_b32 s8, 0
	s_wait_alu 0xfffe
	s_mov_b32 s11, s8
	s_mov_b32 s9, s8
	v_add_co_u32 v6, vcc_lo, v6, v11
	s_wait_alu 0xfffd
	v_add_co_ci_u32_e64 v7, null, v7, v12, vcc_lo
	v_mov_b32_e32 v11, v9
	s_delay_alu instid0(VALU_DEP_3)
	v_add_co_u32 v12, vcc_lo, v6, v34
	s_mov_b32 s10, s8
	s_wait_alu 0xfffe
	v_dual_mov_b32 v8, 33 :: v_dual_mov_b32 v17, s11
	v_dual_mov_b32 v10, v9 :: v_dual_mov_b32 v15, s9
	v_readfirstlane_b32 s6, v6
	v_readfirstlane_b32 s7, v7
	s_wait_alu 0xfffd
	v_add_co_ci_u32_e64 v13, null, 0, v7, vcc_lo
	v_mov_b32_e32 v16, s10
	v_mov_b32_e32 v14, s8
	s_clause 0x3
	global_store_b128 v34, v[8:11], s[6:7]
	global_store_b128 v34, v[14:17], s[6:7] offset:16
	global_store_b128 v34, v[14:17], s[6:7] offset:32
	global_store_b128 v34, v[14:17], s[6:7] offset:48
	s_and_saveexec_b32 s6, s1
	s_cbranch_execz .LBB6_1621
; %bb.1615:
	v_mov_b32_e32 v10, 0
	s_mov_b32 s7, exec_lo
	s_clause 0x1
	global_load_b64 v[16:17], v10, s[2:3] offset:32 scope:SCOPE_SYS
	global_load_b64 v[6:7], v10, s[2:3] offset:40
	v_dual_mov_b32 v15, s5 :: v_dual_mov_b32 v14, s4
	s_wait_loadcnt 0x0
	v_and_b32_e32 v7, s5, v7
	v_and_b32_e32 v6, s4, v6
	s_delay_alu instid0(VALU_DEP_2) | instskip(NEXT) | instid1(VALU_DEP_2)
	v_mul_lo_u32 v7, 24, v7
	v_mul_lo_u32 v8, 0, v6
	v_mul_hi_u32 v9, 24, v6
	v_mul_lo_u32 v6, 24, v6
	s_delay_alu instid0(VALU_DEP_3) | instskip(NEXT) | instid1(VALU_DEP_2)
	v_add_nc_u32_e32 v7, v7, v8
	v_add_co_u32 v8, vcc_lo, v4, v6
	s_delay_alu instid0(VALU_DEP_2) | instskip(SKIP_1) | instid1(VALU_DEP_1)
	v_add_nc_u32_e32 v7, v7, v9
	s_wait_alu 0xfffd
	v_add_co_ci_u32_e64 v9, null, v5, v7, vcc_lo
	global_store_b64 v[8:9], v[16:17], off
	global_wb scope:SCOPE_SYS
	s_wait_storecnt 0x0
	global_atomic_cmpswap_b64 v[6:7], v10, v[14:17], s[2:3] offset:32 th:TH_ATOMIC_RETURN scope:SCOPE_SYS
	s_wait_loadcnt 0x0
	v_cmpx_ne_u64_e64 v[6:7], v[16:17]
	s_cbranch_execz .LBB6_1617
.LBB6_1616:                             ; =>This Inner Loop Header: Depth=1
	v_dual_mov_b32 v4, s4 :: v_dual_mov_b32 v5, s5
	s_sleep 1
	global_store_b64 v[8:9], v[6:7], off
	global_wb scope:SCOPE_SYS
	s_wait_storecnt 0x0
	global_atomic_cmpswap_b64 v[4:5], v10, v[4:7], s[2:3] offset:32 th:TH_ATOMIC_RETURN scope:SCOPE_SYS
	s_wait_loadcnt 0x0
	v_cmp_eq_u64_e32 vcc_lo, v[4:5], v[6:7]
	v_dual_mov_b32 v7, v5 :: v_dual_mov_b32 v6, v4
	s_or_b32 s8, vcc_lo, s8
	s_wait_alu 0xfffe
	s_and_not1_b32 exec_lo, exec_lo, s8
	s_cbranch_execnz .LBB6_1616
.LBB6_1617:
	s_wait_alu 0xfffe
	s_or_b32 exec_lo, exec_lo, s7
	v_mov_b32_e32 v7, 0
	s_mov_b32 s8, exec_lo
	s_mov_b32 s7, exec_lo
	s_wait_alu 0xfffe
	v_mbcnt_lo_u32_b32 v6, s8, 0
	global_load_b64 v[4:5], v7, s[2:3] offset:16
	v_cmpx_eq_u32_e32 0, v6
	s_cbranch_execz .LBB6_1619
; %bb.1618:
	s_bcnt1_i32_b32 s8, s8
	s_wait_alu 0xfffe
	v_mov_b32_e32 v6, s8
	global_wb scope:SCOPE_SYS
	s_wait_loadcnt 0x0
	s_wait_storecnt 0x0
	global_atomic_add_u64 v[4:5], v[6:7], off offset:8 scope:SCOPE_SYS
.LBB6_1619:
	s_or_b32 exec_lo, exec_lo, s7
	s_wait_loadcnt 0x0
	global_load_b64 v[6:7], v[4:5], off offset:16
	s_wait_loadcnt 0x0
	v_cmp_eq_u64_e32 vcc_lo, 0, v[6:7]
	s_cbranch_vccnz .LBB6_1621
; %bb.1620:
	global_load_b32 v4, v[4:5], off offset:24
	v_mov_b32_e32 v5, 0
	s_wait_loadcnt 0x0
	v_readfirstlane_b32 s7, v4
	global_wb scope:SCOPE_SYS
	s_wait_storecnt 0x0
	global_store_b64 v[6:7], v[4:5], off scope:SCOPE_SYS
	s_and_b32 m0, s7, 0xffffff
	s_sendmsg sendmsg(MSG_INTERRUPT)
.LBB6_1621:
	s_wait_alu 0xfffe
	s_or_b32 exec_lo, exec_lo, s6
	s_branch .LBB6_1625
.LBB6_1622:                             ;   in Loop: Header=BB6_1625 Depth=1
	s_wait_alu 0xfffe
	s_or_b32 exec_lo, exec_lo, s6
	s_delay_alu instid0(VALU_DEP_1)
	v_readfirstlane_b32 s6, v4
	s_cmp_eq_u32 s6, 0
	s_cbranch_scc1 .LBB6_1624
; %bb.1623:                             ;   in Loop: Header=BB6_1625 Depth=1
	s_sleep 1
	s_cbranch_execnz .LBB6_1625
	s_branch .LBB6_1627
.LBB6_1624:
	s_branch .LBB6_1627
.LBB6_1625:                             ; =>This Inner Loop Header: Depth=1
	v_mov_b32_e32 v4, 1
	s_and_saveexec_b32 s6, s1
	s_cbranch_execz .LBB6_1622
; %bb.1626:                             ;   in Loop: Header=BB6_1625 Depth=1
	global_load_b32 v4, v[1:2], off offset:20 scope:SCOPE_SYS
	s_wait_loadcnt 0x0
	global_inv scope:SCOPE_SYS
	v_and_b32_e32 v4, 1, v4
	s_branch .LBB6_1622
.LBB6_1627:
	global_load_b64 v[4:5], v[12:13], off
	s_and_saveexec_b32 s6, s1
	s_cbranch_execz .LBB6_1631
; %bb.1628:
	v_mov_b32_e32 v10, 0
	s_clause 0x2
	global_load_b64 v[1:2], v10, s[2:3] offset:40
	global_load_b64 v[13:14], v10, s[2:3] offset:24 scope:SCOPE_SYS
	global_load_b64 v[6:7], v10, s[2:3]
	s_wait_loadcnt 0x2
	v_readfirstlane_b32 s8, v1
	v_readfirstlane_b32 s9, v2
	s_add_nc_u64 s[10:11], s[8:9], 1
	s_wait_alu 0xfffe
	s_add_nc_u64 s[4:5], s[10:11], s[4:5]
	s_wait_alu 0xfffe
	s_cmp_eq_u64 s[4:5], 0
	s_cselect_b32 s5, s11, s5
	s_cselect_b32 s4, s10, s4
	s_wait_alu 0xfffe
	v_mov_b32_e32 v12, s5
	s_and_b64 s[8:9], s[4:5], s[8:9]
	v_mov_b32_e32 v11, s4
	s_wait_alu 0xfffe
	s_mul_u64 s[8:9], s[8:9], 24
	s_wait_loadcnt 0x0
	s_wait_alu 0xfffe
	v_add_co_u32 v1, vcc_lo, v6, s8
	s_wait_alu 0xfffd
	v_add_co_ci_u32_e64 v2, null, s9, v7, vcc_lo
	global_store_b64 v[1:2], v[13:14], off
	global_wb scope:SCOPE_SYS
	s_wait_storecnt 0x0
	global_atomic_cmpswap_b64 v[8:9], v10, v[11:14], s[2:3] offset:24 th:TH_ATOMIC_RETURN scope:SCOPE_SYS
	s_wait_loadcnt 0x0
	v_cmp_ne_u64_e32 vcc_lo, v[8:9], v[13:14]
	s_and_b32 exec_lo, exec_lo, vcc_lo
	s_cbranch_execz .LBB6_1631
; %bb.1629:
	s_mov_b32 s1, 0
.LBB6_1630:                             ; =>This Inner Loop Header: Depth=1
	v_dual_mov_b32 v6, s4 :: v_dual_mov_b32 v7, s5
	s_sleep 1
	global_store_b64 v[1:2], v[8:9], off
	global_wb scope:SCOPE_SYS
	s_wait_storecnt 0x0
	global_atomic_cmpswap_b64 v[6:7], v10, v[6:9], s[2:3] offset:24 th:TH_ATOMIC_RETURN scope:SCOPE_SYS
	s_wait_loadcnt 0x0
	v_cmp_eq_u64_e32 vcc_lo, v[6:7], v[8:9]
	v_dual_mov_b32 v9, v7 :: v_dual_mov_b32 v8, v6
	s_wait_alu 0xfffe
	s_or_b32 s1, vcc_lo, s1
	s_wait_alu 0xfffe
	s_and_not1_b32 exec_lo, exec_lo, s1
	s_cbranch_execnz .LBB6_1630
.LBB6_1631:
	s_wait_alu 0xfffe
	s_or_b32 exec_lo, exec_lo, s6
	s_getpc_b64 s[4:5]
	s_wait_alu 0xfffe
	s_sext_i32_i16 s5, s5
	s_add_co_u32 s4, s4, .str.45@rel32@lo+12
	s_wait_alu 0xfffe
	s_add_co_ci_u32 s5, s5, .str.45@rel32@hi+24
	s_wait_alu 0xfffe
	s_cmp_lg_u64 s[4:5], 0
	s_cbranch_scc0 .LBB6_1717
; %bb.1632:
	s_wait_loadcnt 0x0
	v_dual_mov_b32 v12, 2 :: v_dual_and_b32 v37, 2, v4
	v_dual_mov_b32 v11, 0 :: v_dual_and_b32 v6, -3, v4
	v_mov_b32_e32 v7, v5
	v_mov_b32_e32 v13, 1
	s_mov_b64 s[6:7], 7
	s_branch .LBB6_1634
.LBB6_1633:                             ;   in Loop: Header=BB6_1634 Depth=1
	s_wait_alu 0xfffe
	s_or_b32 exec_lo, exec_lo, s12
	s_sub_nc_u64 s[6:7], s[6:7], s[8:9]
	s_add_nc_u64 s[4:5], s[4:5], s[8:9]
	s_wait_alu 0xfffe
	s_cmp_lg_u64 s[6:7], 0
	s_cbranch_scc0 .LBB6_1716
.LBB6_1634:                             ; =>This Loop Header: Depth=1
                                        ;     Child Loop BB6_1637 Depth 2
                                        ;     Child Loop BB6_1645 Depth 2
	;; [unrolled: 1-line block ×11, first 2 shown]
	s_wait_alu 0xfffe
	v_cmp_lt_u64_e64 s1, s[6:7], 56
	v_cmp_gt_u64_e64 s10, s[6:7], 7
	s_and_b32 s1, s1, exec_lo
	s_cselect_b32 s9, s7, 0
	s_cselect_b32 s8, s6, 56
	s_and_b32 vcc_lo, exec_lo, s10
	s_wait_alu 0xfffe
	s_cbranch_vccnz .LBB6_1639
; %bb.1635:                             ;   in Loop: Header=BB6_1634 Depth=1
	v_mov_b32_e32 v8, 0
	v_mov_b32_e32 v9, 0
	s_cmp_eq_u64 s[6:7], 0
	s_cbranch_scc1 .LBB6_1638
; %bb.1636:                             ;   in Loop: Header=BB6_1634 Depth=1
	s_mov_b64 s[10:11], 0
	s_mov_b64 s[12:13], 0
.LBB6_1637:                             ;   Parent Loop BB6_1634 Depth=1
                                        ; =>  This Inner Loop Header: Depth=2
	s_wait_alu 0xfffe
	s_add_nc_u64 s[14:15], s[4:5], s[12:13]
	s_add_nc_u64 s[12:13], s[12:13], 1
	global_load_u8 v1, v11, s[14:15]
	s_wait_alu 0xfffe
	s_cmp_lg_u32 s8, s12
	s_wait_loadcnt 0x0
	v_and_b32_e32 v10, 0xffff, v1
	s_delay_alu instid0(VALU_DEP_1) | instskip(SKIP_1) | instid1(VALU_DEP_1)
	v_lshlrev_b64_e32 v[1:2], s10, v[10:11]
	s_add_nc_u64 s[10:11], s[10:11], 8
	v_or_b32_e32 v8, v1, v8
	s_delay_alu instid0(VALU_DEP_2)
	v_or_b32_e32 v9, v2, v9
	s_cbranch_scc1 .LBB6_1637
.LBB6_1638:                             ;   in Loop: Header=BB6_1634 Depth=1
	s_mov_b32 s1, 0
	s_mov_b64 s[12:13], s[4:5]
	s_branch .LBB6_1640
.LBB6_1639:                             ;   in Loop: Header=BB6_1634 Depth=1
	s_add_nc_u64 s[12:13], s[4:5], 8
	s_mov_b32 s1, -1
.LBB6_1640:                             ;   in Loop: Header=BB6_1634 Depth=1
	s_wait_alu 0xfffe
	s_and_not1_b32 vcc_lo, exec_lo, s1
	s_mov_b32 s1, 0
	s_wait_alu 0xfffe
	s_cbranch_vccnz .LBB6_1642
; %bb.1641:                             ;   in Loop: Header=BB6_1634 Depth=1
	global_load_b64 v[8:9], v11, s[4:5]
	s_add_co_i32 s1, s8, -8
.LBB6_1642:                             ;   in Loop: Header=BB6_1634 Depth=1
	s_wait_alu 0xfffe
	s_cmp_gt_u32 s1, 7
	s_cbranch_scc1 .LBB6_1647
; %bb.1643:                             ;   in Loop: Header=BB6_1634 Depth=1
	v_mov_b32_e32 v14, 0
	v_mov_b32_e32 v15, 0
	s_cmp_eq_u32 s1, 0
	s_cbranch_scc1 .LBB6_1646
; %bb.1644:                             ;   in Loop: Header=BB6_1634 Depth=1
	s_mov_b64 s[10:11], 0
	s_mov_b64 s[14:15], 0
.LBB6_1645:                             ;   Parent Loop BB6_1634 Depth=1
                                        ; =>  This Inner Loop Header: Depth=2
	s_wait_alu 0xfffe
	s_add_nc_u64 s[20:21], s[12:13], s[14:15]
	s_add_nc_u64 s[14:15], s[14:15], 1
	global_load_u8 v1, v11, s[20:21]
	s_wait_alu 0xfffe
	s_cmp_lg_u32 s1, s14
	s_wait_loadcnt 0x0
	v_and_b32_e32 v10, 0xffff, v1
	s_delay_alu instid0(VALU_DEP_1) | instskip(SKIP_1) | instid1(VALU_DEP_1)
	v_lshlrev_b64_e32 v[1:2], s10, v[10:11]
	s_add_nc_u64 s[10:11], s[10:11], 8
	v_or_b32_e32 v14, v1, v14
	s_delay_alu instid0(VALU_DEP_2)
	v_or_b32_e32 v15, v2, v15
	s_cbranch_scc1 .LBB6_1645
.LBB6_1646:                             ;   in Loop: Header=BB6_1634 Depth=1
	s_mov_b32 s14, 0
	s_mov_b64 s[10:11], s[12:13]
	s_branch .LBB6_1648
.LBB6_1647:                             ;   in Loop: Header=BB6_1634 Depth=1
	s_add_nc_u64 s[10:11], s[12:13], 8
	s_mov_b32 s14, -1
                                        ; implicit-def: $vgpr14_vgpr15
.LBB6_1648:                             ;   in Loop: Header=BB6_1634 Depth=1
	s_wait_alu 0xfffe
	s_and_not1_b32 vcc_lo, exec_lo, s14
	s_mov_b32 s19, 0
	s_wait_alu 0xfffe
	s_cbranch_vccnz .LBB6_1650
; %bb.1649:                             ;   in Loop: Header=BB6_1634 Depth=1
	global_load_b64 v[14:15], v11, s[12:13]
	s_add_co_i32 s19, s1, -8
.LBB6_1650:                             ;   in Loop: Header=BB6_1634 Depth=1
	s_wait_alu 0xfffe
	s_cmp_gt_u32 s19, 7
	s_cbranch_scc1 .LBB6_1655
; %bb.1651:                             ;   in Loop: Header=BB6_1634 Depth=1
	v_mov_b32_e32 v16, 0
	v_mov_b32_e32 v17, 0
	s_cmp_eq_u32 s19, 0
	s_cbranch_scc1 .LBB6_1654
; %bb.1652:                             ;   in Loop: Header=BB6_1634 Depth=1
	s_mov_b64 s[12:13], 0
	s_mov_b64 s[14:15], 0
.LBB6_1653:                             ;   Parent Loop BB6_1634 Depth=1
                                        ; =>  This Inner Loop Header: Depth=2
	s_wait_alu 0xfffe
	s_add_nc_u64 s[20:21], s[10:11], s[14:15]
	s_add_nc_u64 s[14:15], s[14:15], 1
	global_load_u8 v1, v11, s[20:21]
	s_wait_alu 0xfffe
	s_cmp_lg_u32 s19, s14
	s_wait_loadcnt 0x0
	v_and_b32_e32 v10, 0xffff, v1
	s_delay_alu instid0(VALU_DEP_1) | instskip(SKIP_1) | instid1(VALU_DEP_1)
	v_lshlrev_b64_e32 v[1:2], s12, v[10:11]
	s_add_nc_u64 s[12:13], s[12:13], 8
	v_or_b32_e32 v16, v1, v16
	s_delay_alu instid0(VALU_DEP_2)
	v_or_b32_e32 v17, v2, v17
	s_cbranch_scc1 .LBB6_1653
.LBB6_1654:                             ;   in Loop: Header=BB6_1634 Depth=1
	s_mov_b32 s1, 0
	s_mov_b64 s[12:13], s[10:11]
	s_branch .LBB6_1656
.LBB6_1655:                             ;   in Loop: Header=BB6_1634 Depth=1
	s_add_nc_u64 s[12:13], s[10:11], 8
	s_mov_b32 s1, -1
.LBB6_1656:                             ;   in Loop: Header=BB6_1634 Depth=1
	s_wait_alu 0xfffe
	s_and_not1_b32 vcc_lo, exec_lo, s1
	s_mov_b32 s1, 0
	s_wait_alu 0xfffe
	s_cbranch_vccnz .LBB6_1658
; %bb.1657:                             ;   in Loop: Header=BB6_1634 Depth=1
	global_load_b64 v[16:17], v11, s[10:11]
	s_add_co_i32 s1, s19, -8
.LBB6_1658:                             ;   in Loop: Header=BB6_1634 Depth=1
	s_wait_alu 0xfffe
	s_cmp_gt_u32 s1, 7
	s_cbranch_scc1 .LBB6_1663
; %bb.1659:                             ;   in Loop: Header=BB6_1634 Depth=1
	v_mov_b32_e32 v18, 0
	v_mov_b32_e32 v19, 0
	s_cmp_eq_u32 s1, 0
	s_cbranch_scc1 .LBB6_1662
; %bb.1660:                             ;   in Loop: Header=BB6_1634 Depth=1
	s_mov_b64 s[10:11], 0
	s_mov_b64 s[14:15], 0
.LBB6_1661:                             ;   Parent Loop BB6_1634 Depth=1
                                        ; =>  This Inner Loop Header: Depth=2
	s_wait_alu 0xfffe
	s_add_nc_u64 s[20:21], s[12:13], s[14:15]
	s_add_nc_u64 s[14:15], s[14:15], 1
	global_load_u8 v1, v11, s[20:21]
	s_wait_alu 0xfffe
	s_cmp_lg_u32 s1, s14
	s_wait_loadcnt 0x0
	v_and_b32_e32 v10, 0xffff, v1
	s_delay_alu instid0(VALU_DEP_1) | instskip(SKIP_1) | instid1(VALU_DEP_1)
	v_lshlrev_b64_e32 v[1:2], s10, v[10:11]
	s_add_nc_u64 s[10:11], s[10:11], 8
	v_or_b32_e32 v18, v1, v18
	s_delay_alu instid0(VALU_DEP_2)
	v_or_b32_e32 v19, v2, v19
	s_cbranch_scc1 .LBB6_1661
.LBB6_1662:                             ;   in Loop: Header=BB6_1634 Depth=1
	s_mov_b32 s14, 0
	s_mov_b64 s[10:11], s[12:13]
	s_branch .LBB6_1664
.LBB6_1663:                             ;   in Loop: Header=BB6_1634 Depth=1
	s_add_nc_u64 s[10:11], s[12:13], 8
	s_mov_b32 s14, -1
                                        ; implicit-def: $vgpr18_vgpr19
.LBB6_1664:                             ;   in Loop: Header=BB6_1634 Depth=1
	s_wait_alu 0xfffe
	s_and_not1_b32 vcc_lo, exec_lo, s14
	s_mov_b32 s19, 0
	s_wait_alu 0xfffe
	s_cbranch_vccnz .LBB6_1666
; %bb.1665:                             ;   in Loop: Header=BB6_1634 Depth=1
	global_load_b64 v[18:19], v11, s[12:13]
	s_add_co_i32 s19, s1, -8
.LBB6_1666:                             ;   in Loop: Header=BB6_1634 Depth=1
	s_wait_alu 0xfffe
	s_cmp_gt_u32 s19, 7
	s_cbranch_scc1 .LBB6_1671
; %bb.1667:                             ;   in Loop: Header=BB6_1634 Depth=1
	v_mov_b32_e32 v20, 0
	v_mov_b32_e32 v21, 0
	s_cmp_eq_u32 s19, 0
	s_cbranch_scc1 .LBB6_1670
; %bb.1668:                             ;   in Loop: Header=BB6_1634 Depth=1
	s_mov_b64 s[12:13], 0
	s_mov_b64 s[14:15], 0
.LBB6_1669:                             ;   Parent Loop BB6_1634 Depth=1
                                        ; =>  This Inner Loop Header: Depth=2
	s_wait_alu 0xfffe
	s_add_nc_u64 s[20:21], s[10:11], s[14:15]
	s_add_nc_u64 s[14:15], s[14:15], 1
	global_load_u8 v1, v11, s[20:21]
	s_wait_alu 0xfffe
	s_cmp_lg_u32 s19, s14
	s_wait_loadcnt 0x0
	v_and_b32_e32 v10, 0xffff, v1
	s_delay_alu instid0(VALU_DEP_1) | instskip(SKIP_1) | instid1(VALU_DEP_1)
	v_lshlrev_b64_e32 v[1:2], s12, v[10:11]
	s_add_nc_u64 s[12:13], s[12:13], 8
	v_or_b32_e32 v20, v1, v20
	s_delay_alu instid0(VALU_DEP_2)
	v_or_b32_e32 v21, v2, v21
	s_cbranch_scc1 .LBB6_1669
.LBB6_1670:                             ;   in Loop: Header=BB6_1634 Depth=1
	s_mov_b32 s1, 0
	s_mov_b64 s[12:13], s[10:11]
	s_branch .LBB6_1672
.LBB6_1671:                             ;   in Loop: Header=BB6_1634 Depth=1
	s_add_nc_u64 s[12:13], s[10:11], 8
	s_mov_b32 s1, -1
.LBB6_1672:                             ;   in Loop: Header=BB6_1634 Depth=1
	s_wait_alu 0xfffe
	s_and_not1_b32 vcc_lo, exec_lo, s1
	s_mov_b32 s1, 0
	s_wait_alu 0xfffe
	s_cbranch_vccnz .LBB6_1674
; %bb.1673:                             ;   in Loop: Header=BB6_1634 Depth=1
	global_load_b64 v[20:21], v11, s[10:11]
	s_add_co_i32 s1, s19, -8
.LBB6_1674:                             ;   in Loop: Header=BB6_1634 Depth=1
	s_wait_alu 0xfffe
	s_cmp_gt_u32 s1, 7
	s_cbranch_scc1 .LBB6_1679
; %bb.1675:                             ;   in Loop: Header=BB6_1634 Depth=1
	v_mov_b32_e32 v22, 0
	v_mov_b32_e32 v23, 0
	s_cmp_eq_u32 s1, 0
	s_cbranch_scc1 .LBB6_1678
; %bb.1676:                             ;   in Loop: Header=BB6_1634 Depth=1
	s_mov_b64 s[10:11], 0
	s_mov_b64 s[14:15], 0
.LBB6_1677:                             ;   Parent Loop BB6_1634 Depth=1
                                        ; =>  This Inner Loop Header: Depth=2
	s_wait_alu 0xfffe
	s_add_nc_u64 s[20:21], s[12:13], s[14:15]
	s_add_nc_u64 s[14:15], s[14:15], 1
	global_load_u8 v1, v11, s[20:21]
	s_wait_alu 0xfffe
	s_cmp_lg_u32 s1, s14
	s_wait_loadcnt 0x0
	v_and_b32_e32 v10, 0xffff, v1
	s_delay_alu instid0(VALU_DEP_1) | instskip(SKIP_1) | instid1(VALU_DEP_1)
	v_lshlrev_b64_e32 v[1:2], s10, v[10:11]
	s_add_nc_u64 s[10:11], s[10:11], 8
	v_or_b32_e32 v22, v1, v22
	s_delay_alu instid0(VALU_DEP_2)
	v_or_b32_e32 v23, v2, v23
	s_cbranch_scc1 .LBB6_1677
.LBB6_1678:                             ;   in Loop: Header=BB6_1634 Depth=1
	s_mov_b32 s14, 0
	s_mov_b64 s[10:11], s[12:13]
	s_branch .LBB6_1680
.LBB6_1679:                             ;   in Loop: Header=BB6_1634 Depth=1
	s_add_nc_u64 s[10:11], s[12:13], 8
	s_mov_b32 s14, -1
                                        ; implicit-def: $vgpr22_vgpr23
.LBB6_1680:                             ;   in Loop: Header=BB6_1634 Depth=1
	s_wait_alu 0xfffe
	s_and_not1_b32 vcc_lo, exec_lo, s14
	s_mov_b32 s19, 0
	s_wait_alu 0xfffe
	s_cbranch_vccnz .LBB6_1682
; %bb.1681:                             ;   in Loop: Header=BB6_1634 Depth=1
	global_load_b64 v[22:23], v11, s[12:13]
	s_add_co_i32 s19, s1, -8
.LBB6_1682:                             ;   in Loop: Header=BB6_1634 Depth=1
	s_wait_alu 0xfffe
	s_cmp_gt_u32 s19, 7
	s_cbranch_scc1 .LBB6_1687
; %bb.1683:                             ;   in Loop: Header=BB6_1634 Depth=1
	v_mov_b32_e32 v24, 0
	v_mov_b32_e32 v25, 0
	s_cmp_eq_u32 s19, 0
	s_cbranch_scc1 .LBB6_1686
; %bb.1684:                             ;   in Loop: Header=BB6_1634 Depth=1
	s_mov_b64 s[12:13], 0
	s_mov_b64 s[14:15], s[10:11]
.LBB6_1685:                             ;   Parent Loop BB6_1634 Depth=1
                                        ; =>  This Inner Loop Header: Depth=2
	global_load_u8 v1, v11, s[14:15]
	s_add_co_i32 s19, s19, -1
	s_wait_alu 0xfffe
	s_add_nc_u64 s[14:15], s[14:15], 1
	s_cmp_lg_u32 s19, 0
	s_wait_loadcnt 0x0
	v_and_b32_e32 v10, 0xffff, v1
	s_delay_alu instid0(VALU_DEP_1) | instskip(SKIP_1) | instid1(VALU_DEP_1)
	v_lshlrev_b64_e32 v[1:2], s12, v[10:11]
	s_add_nc_u64 s[12:13], s[12:13], 8
	v_or_b32_e32 v24, v1, v24
	s_delay_alu instid0(VALU_DEP_2)
	v_or_b32_e32 v25, v2, v25
	s_cbranch_scc1 .LBB6_1685
.LBB6_1686:                             ;   in Loop: Header=BB6_1634 Depth=1
	s_mov_b32 s1, 0
	s_branch .LBB6_1688
.LBB6_1687:                             ;   in Loop: Header=BB6_1634 Depth=1
	s_mov_b32 s1, -1
.LBB6_1688:                             ;   in Loop: Header=BB6_1634 Depth=1
	s_wait_alu 0xfffe
	s_and_not1_b32 vcc_lo, exec_lo, s1
	s_wait_alu 0xfffe
	s_cbranch_vccnz .LBB6_1690
; %bb.1689:                             ;   in Loop: Header=BB6_1634 Depth=1
	global_load_b64 v[24:25], v11, s[10:11]
.LBB6_1690:                             ;   in Loop: Header=BB6_1634 Depth=1
	v_readfirstlane_b32 s1, v35
	v_mov_b32_e32 v1, 0
	v_mov_b32_e32 v2, 0
	s_wait_alu 0xf1ff
	s_delay_alu instid0(VALU_DEP_3)
	v_cmp_eq_u32_e64 s1, s1, v35
	s_and_saveexec_b32 s10, s1
	s_cbranch_execz .LBB6_1696
; %bb.1691:                             ;   in Loop: Header=BB6_1634 Depth=1
	global_load_b64 v[28:29], v11, s[2:3] offset:24 scope:SCOPE_SYS
	s_wait_loadcnt 0x0
	global_inv scope:SCOPE_SYS
	s_clause 0x1
	global_load_b64 v[1:2], v11, s[2:3] offset:40
	global_load_b64 v[26:27], v11, s[2:3]
	s_mov_b32 s11, exec_lo
	s_wait_loadcnt 0x1
	v_and_b32_e32 v2, v2, v29
	v_and_b32_e32 v1, v1, v28
	s_delay_alu instid0(VALU_DEP_2) | instskip(NEXT) | instid1(VALU_DEP_2)
	v_mul_lo_u32 v2, 24, v2
	v_mul_lo_u32 v10, 0, v1
	v_mul_hi_u32 v31, 24, v1
	v_mul_lo_u32 v1, 24, v1
	s_delay_alu instid0(VALU_DEP_3) | instskip(SKIP_1) | instid1(VALU_DEP_2)
	v_add_nc_u32_e32 v2, v2, v10
	s_wait_loadcnt 0x0
	v_add_co_u32 v1, vcc_lo, v26, v1
	s_delay_alu instid0(VALU_DEP_2) | instskip(SKIP_1) | instid1(VALU_DEP_1)
	v_add_nc_u32_e32 v2, v2, v31
	s_wait_alu 0xfffd
	v_add_co_ci_u32_e64 v2, null, v27, v2, vcc_lo
	global_load_b64 v[26:27], v[1:2], off scope:SCOPE_SYS
	s_wait_loadcnt 0x0
	global_atomic_cmpswap_b64 v[1:2], v11, v[26:29], s[2:3] offset:24 th:TH_ATOMIC_RETURN scope:SCOPE_SYS
	s_wait_loadcnt 0x0
	global_inv scope:SCOPE_SYS
	v_cmpx_ne_u64_e64 v[1:2], v[28:29]
	s_cbranch_execz .LBB6_1695
; %bb.1692:                             ;   in Loop: Header=BB6_1634 Depth=1
	s_mov_b32 s12, 0
.LBB6_1693:                             ;   Parent Loop BB6_1634 Depth=1
                                        ; =>  This Inner Loop Header: Depth=2
	s_sleep 1
	s_clause 0x1
	global_load_b64 v[26:27], v11, s[2:3] offset:40
	global_load_b64 v[31:32], v11, s[2:3]
	v_dual_mov_b32 v29, v2 :: v_dual_mov_b32 v28, v1
	s_wait_loadcnt 0x1
	s_delay_alu instid0(VALU_DEP_1) | instskip(NEXT) | instid1(VALU_DEP_2)
	v_and_b32_e32 v1, v26, v28
	v_and_b32_e32 v10, v27, v29
	s_wait_loadcnt 0x0
	s_delay_alu instid0(VALU_DEP_2) | instskip(NEXT) | instid1(VALU_DEP_1)
	v_mad_co_u64_u32 v[1:2], null, v1, 24, v[31:32]
	v_mad_co_u64_u32 v[26:27], null, v10, 24, v[2:3]
	s_delay_alu instid0(VALU_DEP_1)
	v_mov_b32_e32 v2, v26
	global_load_b64 v[26:27], v[1:2], off scope:SCOPE_SYS
	s_wait_loadcnt 0x0
	global_atomic_cmpswap_b64 v[1:2], v11, v[26:29], s[2:3] offset:24 th:TH_ATOMIC_RETURN scope:SCOPE_SYS
	s_wait_loadcnt 0x0
	global_inv scope:SCOPE_SYS
	v_cmp_eq_u64_e32 vcc_lo, v[1:2], v[28:29]
	s_wait_alu 0xfffe
	s_or_b32 s12, vcc_lo, s12
	s_wait_alu 0xfffe
	s_and_not1_b32 exec_lo, exec_lo, s12
	s_cbranch_execnz .LBB6_1693
; %bb.1694:                             ;   in Loop: Header=BB6_1634 Depth=1
	s_or_b32 exec_lo, exec_lo, s12
.LBB6_1695:                             ;   in Loop: Header=BB6_1634 Depth=1
	s_wait_alu 0xfffe
	s_or_b32 exec_lo, exec_lo, s11
.LBB6_1696:                             ;   in Loop: Header=BB6_1634 Depth=1
	s_wait_alu 0xfffe
	s_or_b32 exec_lo, exec_lo, s10
	s_clause 0x1
	global_load_b64 v[31:32], v11, s[2:3] offset:40
	global_load_b128 v[26:29], v11, s[2:3]
	v_readfirstlane_b32 s11, v2
	v_readfirstlane_b32 s10, v1
	s_mov_b32 s12, exec_lo
	s_wait_loadcnt 0x1
	s_wait_alu 0xf1ff
	v_and_b32_e32 v32, s11, v32
	v_and_b32_e32 v31, s10, v31
	s_delay_alu instid0(VALU_DEP_2) | instskip(NEXT) | instid1(VALU_DEP_2)
	v_mul_lo_u32 v1, 24, v32
	v_mul_lo_u32 v2, 0, v31
	v_mul_hi_u32 v10, 24, v31
	v_mul_lo_u32 v38, 24, v31
	s_delay_alu instid0(VALU_DEP_3) | instskip(NEXT) | instid1(VALU_DEP_1)
	v_add_nc_u32_e32 v1, v1, v2
	v_add_nc_u32_e32 v2, v1, v10
	s_wait_loadcnt 0x0
	s_delay_alu instid0(VALU_DEP_3) | instskip(SKIP_1) | instid1(VALU_DEP_2)
	v_add_co_u32 v1, vcc_lo, v26, v38
	s_wait_alu 0xfffd
	v_add_co_ci_u32_e64 v2, null, v27, v2, vcc_lo
	s_and_saveexec_b32 s13, s1
	s_cbranch_execz .LBB6_1698
; %bb.1697:                             ;   in Loop: Header=BB6_1634 Depth=1
	s_wait_alu 0xfffe
	v_mov_b32_e32 v10, s12
	global_store_b128 v[1:2], v[10:13], off offset:8
.LBB6_1698:                             ;   in Loop: Header=BB6_1634 Depth=1
	s_wait_alu 0xfffe
	s_or_b32 exec_lo, exec_lo, s13
	v_cmp_lt_u64_e64 vcc_lo, s[6:7], 57
	v_lshlrev_b64_e32 v[31:32], 12, v[31:32]
	v_and_b32_e32 v6, 0xffffff1f, v6
	s_lshl_b32 s12, s8, 2
	s_wait_alu 0xfffe
	s_add_co_i32 s12, s12, 28
	s_wait_alu 0xfffd
	v_cndmask_b32_e32 v10, 0, v37, vcc_lo
	v_add_co_u32 v28, vcc_lo, v28, v31
	s_wait_alu 0xfffd
	v_add_co_ci_u32_e64 v29, null, v29, v32, vcc_lo
	s_delay_alu instid0(VALU_DEP_3) | instskip(NEXT) | instid1(VALU_DEP_2)
	v_or_b32_e32 v6, v6, v10
	v_readfirstlane_b32 s13, v29
	s_wait_alu 0xfffe
	s_delay_alu instid0(VALU_DEP_2)
	v_and_or_b32 v6, 0x1e0, s12, v6
	v_readfirstlane_b32 s12, v28
	s_clause 0x3
	global_store_b128 v34, v[6:9], s[12:13]
	global_store_b128 v34, v[14:17], s[12:13] offset:16
	global_store_b128 v34, v[18:21], s[12:13] offset:32
	;; [unrolled: 1-line block ×3, first 2 shown]
	s_and_saveexec_b32 s12, s1
	s_cbranch_execz .LBB6_1706
; %bb.1699:                             ;   in Loop: Header=BB6_1634 Depth=1
	s_clause 0x1
	global_load_b64 v[18:19], v11, s[2:3] offset:32 scope:SCOPE_SYS
	global_load_b64 v[6:7], v11, s[2:3] offset:40
	s_mov_b32 s13, exec_lo
	v_dual_mov_b32 v16, s10 :: v_dual_mov_b32 v17, s11
	s_wait_loadcnt 0x0
	v_and_b32_e32 v6, s10, v6
	v_and_b32_e32 v7, s11, v7
	s_delay_alu instid0(VALU_DEP_2) | instskip(NEXT) | instid1(VALU_DEP_2)
	v_mul_lo_u32 v8, 0, v6
	v_mul_lo_u32 v7, 24, v7
	v_mul_hi_u32 v9, 24, v6
	v_mul_lo_u32 v6, 24, v6
	s_delay_alu instid0(VALU_DEP_3) | instskip(NEXT) | instid1(VALU_DEP_2)
	v_add_nc_u32_e32 v7, v7, v8
	v_add_co_u32 v14, vcc_lo, v26, v6
	s_delay_alu instid0(VALU_DEP_2) | instskip(SKIP_1) | instid1(VALU_DEP_1)
	v_add_nc_u32_e32 v7, v7, v9
	s_wait_alu 0xfffd
	v_add_co_ci_u32_e64 v15, null, v27, v7, vcc_lo
	global_store_b64 v[14:15], v[18:19], off
	global_wb scope:SCOPE_SYS
	s_wait_storecnt 0x0
	global_atomic_cmpswap_b64 v[8:9], v11, v[16:19], s[2:3] offset:32 th:TH_ATOMIC_RETURN scope:SCOPE_SYS
	s_wait_loadcnt 0x0
	v_cmpx_ne_u64_e64 v[8:9], v[18:19]
	s_cbranch_execz .LBB6_1702
; %bb.1700:                             ;   in Loop: Header=BB6_1634 Depth=1
	s_mov_b32 s14, 0
.LBB6_1701:                             ;   Parent Loop BB6_1634 Depth=1
                                        ; =>  This Inner Loop Header: Depth=2
	v_dual_mov_b32 v6, s10 :: v_dual_mov_b32 v7, s11
	s_sleep 1
	global_store_b64 v[14:15], v[8:9], off
	global_wb scope:SCOPE_SYS
	s_wait_storecnt 0x0
	global_atomic_cmpswap_b64 v[6:7], v11, v[6:9], s[2:3] offset:32 th:TH_ATOMIC_RETURN scope:SCOPE_SYS
	s_wait_loadcnt 0x0
	v_cmp_eq_u64_e32 vcc_lo, v[6:7], v[8:9]
	v_dual_mov_b32 v9, v7 :: v_dual_mov_b32 v8, v6
	s_wait_alu 0xfffe
	s_or_b32 s14, vcc_lo, s14
	s_wait_alu 0xfffe
	s_and_not1_b32 exec_lo, exec_lo, s14
	s_cbranch_execnz .LBB6_1701
.LBB6_1702:                             ;   in Loop: Header=BB6_1634 Depth=1
	s_wait_alu 0xfffe
	s_or_b32 exec_lo, exec_lo, s13
	global_load_b64 v[6:7], v11, s[2:3] offset:16
	s_mov_b32 s14, exec_lo
	s_mov_b32 s13, exec_lo
	s_wait_alu 0xfffe
	v_mbcnt_lo_u32_b32 v8, s14, 0
	s_delay_alu instid0(VALU_DEP_1)
	v_cmpx_eq_u32_e32 0, v8
	s_cbranch_execz .LBB6_1704
; %bb.1703:                             ;   in Loop: Header=BB6_1634 Depth=1
	s_bcnt1_i32_b32 s14, s14
	s_wait_alu 0xfffe
	v_mov_b32_e32 v10, s14
	global_wb scope:SCOPE_SYS
	s_wait_loadcnt 0x0
	s_wait_storecnt 0x0
	global_atomic_add_u64 v[6:7], v[10:11], off offset:8 scope:SCOPE_SYS
.LBB6_1704:                             ;   in Loop: Header=BB6_1634 Depth=1
	s_or_b32 exec_lo, exec_lo, s13
	s_wait_loadcnt 0x0
	global_load_b64 v[8:9], v[6:7], off offset:16
	s_wait_loadcnt 0x0
	v_cmp_eq_u64_e32 vcc_lo, 0, v[8:9]
	s_cbranch_vccnz .LBB6_1706
; %bb.1705:                             ;   in Loop: Header=BB6_1634 Depth=1
	global_load_b32 v10, v[6:7], off offset:24
	s_wait_loadcnt 0x0
	v_readfirstlane_b32 s13, v10
	global_wb scope:SCOPE_SYS
	s_wait_storecnt 0x0
	global_store_b64 v[8:9], v[10:11], off scope:SCOPE_SYS
	s_and_b32 m0, s13, 0xffffff
	s_sendmsg sendmsg(MSG_INTERRUPT)
.LBB6_1706:                             ;   in Loop: Header=BB6_1634 Depth=1
	s_wait_alu 0xfffe
	s_or_b32 exec_lo, exec_lo, s12
	v_add_co_u32 v6, vcc_lo, v28, v34
	s_wait_alu 0xfffd
	v_add_co_ci_u32_e64 v7, null, 0, v29, vcc_lo
	s_branch .LBB6_1710
.LBB6_1707:                             ;   in Loop: Header=BB6_1710 Depth=2
	s_wait_alu 0xfffe
	s_or_b32 exec_lo, exec_lo, s12
	s_delay_alu instid0(VALU_DEP_1)
	v_readfirstlane_b32 s12, v8
	s_cmp_eq_u32 s12, 0
	s_cbranch_scc1 .LBB6_1709
; %bb.1708:                             ;   in Loop: Header=BB6_1710 Depth=2
	s_sleep 1
	s_cbranch_execnz .LBB6_1710
	s_branch .LBB6_1712
.LBB6_1709:                             ;   in Loop: Header=BB6_1634 Depth=1
	s_branch .LBB6_1712
.LBB6_1710:                             ;   Parent Loop BB6_1634 Depth=1
                                        ; =>  This Inner Loop Header: Depth=2
	v_mov_b32_e32 v8, 1
	s_and_saveexec_b32 s12, s1
	s_cbranch_execz .LBB6_1707
; %bb.1711:                             ;   in Loop: Header=BB6_1710 Depth=2
	global_load_b32 v8, v[1:2], off offset:20 scope:SCOPE_SYS
	s_wait_loadcnt 0x0
	global_inv scope:SCOPE_SYS
	v_and_b32_e32 v8, 1, v8
	s_branch .LBB6_1707
.LBB6_1712:                             ;   in Loop: Header=BB6_1634 Depth=1
	global_load_b64 v[6:7], v[6:7], off
	s_and_saveexec_b32 s12, s1
	s_cbranch_execz .LBB6_1633
; %bb.1713:                             ;   in Loop: Header=BB6_1634 Depth=1
	s_clause 0x2
	global_load_b64 v[1:2], v11, s[2:3] offset:40
	global_load_b64 v[18:19], v11, s[2:3] offset:24 scope:SCOPE_SYS
	global_load_b64 v[8:9], v11, s[2:3]
	s_wait_loadcnt 0x2
	v_readfirstlane_b32 s14, v1
	v_readfirstlane_b32 s15, v2
	s_add_nc_u64 s[20:21], s[14:15], 1
	s_wait_alu 0xfffe
	s_add_nc_u64 s[10:11], s[20:21], s[10:11]
	s_wait_alu 0xfffe
	s_cmp_eq_u64 s[10:11], 0
	s_cselect_b32 s11, s21, s11
	s_cselect_b32 s10, s20, s10
	s_wait_alu 0xfffe
	v_dual_mov_b32 v17, s11 :: v_dual_mov_b32 v16, s10
	s_and_b64 s[14:15], s[10:11], s[14:15]
	s_wait_alu 0xfffe
	s_mul_u64 s[14:15], s[14:15], 24
	s_wait_loadcnt 0x0
	s_wait_alu 0xfffe
	v_add_co_u32 v1, vcc_lo, v8, s14
	s_wait_alu 0xfffd
	v_add_co_ci_u32_e64 v2, null, s15, v9, vcc_lo
	global_store_b64 v[1:2], v[18:19], off
	global_wb scope:SCOPE_SYS
	s_wait_storecnt 0x0
	global_atomic_cmpswap_b64 v[16:17], v11, v[16:19], s[2:3] offset:24 th:TH_ATOMIC_RETURN scope:SCOPE_SYS
	s_wait_loadcnt 0x0
	v_cmp_ne_u64_e32 vcc_lo, v[16:17], v[18:19]
	s_and_b32 exec_lo, exec_lo, vcc_lo
	s_cbranch_execz .LBB6_1633
; %bb.1714:                             ;   in Loop: Header=BB6_1634 Depth=1
	s_mov_b32 s1, 0
.LBB6_1715:                             ;   Parent Loop BB6_1634 Depth=1
                                        ; =>  This Inner Loop Header: Depth=2
	v_dual_mov_b32 v14, s10 :: v_dual_mov_b32 v15, s11
	s_sleep 1
	global_store_b64 v[1:2], v[16:17], off
	global_wb scope:SCOPE_SYS
	s_wait_storecnt 0x0
	global_atomic_cmpswap_b64 v[8:9], v11, v[14:17], s[2:3] offset:24 th:TH_ATOMIC_RETURN scope:SCOPE_SYS
	s_wait_loadcnt 0x0
	v_cmp_eq_u64_e32 vcc_lo, v[8:9], v[16:17]
	v_dual_mov_b32 v17, v9 :: v_dual_mov_b32 v16, v8
	s_wait_alu 0xfffe
	s_or_b32 s1, vcc_lo, s1
	s_wait_alu 0xfffe
	s_and_not1_b32 exec_lo, exec_lo, s1
	s_cbranch_execnz .LBB6_1715
	s_branch .LBB6_1633
.LBB6_1716:
	s_mov_b32 s1, 0
	s_branch .LBB6_1718
.LBB6_1717:
	s_mov_b32 s1, -1
                                        ; implicit-def: $vgpr6_vgpr7
.LBB6_1718:
	s_wait_alu 0xfffe
	s_and_b32 vcc_lo, exec_lo, s1
	s_wait_alu 0xfffe
	s_cbranch_vccz .LBB6_1745
; %bb.1719:
	v_readfirstlane_b32 s1, v35
	v_mov_b32_e32 v1, 0
	v_mov_b32_e32 v2, 0
	s_wait_alu 0xf1ff
	s_delay_alu instid0(VALU_DEP_3)
	v_cmp_eq_u32_e64 s1, s1, v35
	s_and_saveexec_b32 s4, s1
	s_cbranch_execz .LBB6_1725
; %bb.1720:
	s_wait_loadcnt 0x0
	v_mov_b32_e32 v6, 0
	s_mov_b32 s5, exec_lo
	global_load_b64 v[9:10], v6, s[2:3] offset:24 scope:SCOPE_SYS
	s_wait_loadcnt 0x0
	global_inv scope:SCOPE_SYS
	s_clause 0x1
	global_load_b64 v[1:2], v6, s[2:3] offset:40
	global_load_b64 v[7:8], v6, s[2:3]
	s_wait_loadcnt 0x1
	v_and_b32_e32 v2, v2, v10
	v_and_b32_e32 v1, v1, v9
	s_delay_alu instid0(VALU_DEP_2) | instskip(NEXT) | instid1(VALU_DEP_2)
	v_mul_lo_u32 v2, 24, v2
	v_mul_lo_u32 v11, 0, v1
	v_mul_hi_u32 v12, 24, v1
	v_mul_lo_u32 v1, 24, v1
	s_delay_alu instid0(VALU_DEP_3) | instskip(SKIP_1) | instid1(VALU_DEP_2)
	v_add_nc_u32_e32 v2, v2, v11
	s_wait_loadcnt 0x0
	v_add_co_u32 v1, vcc_lo, v7, v1
	s_delay_alu instid0(VALU_DEP_2) | instskip(SKIP_1) | instid1(VALU_DEP_1)
	v_add_nc_u32_e32 v2, v2, v12
	s_wait_alu 0xfffd
	v_add_co_ci_u32_e64 v2, null, v8, v2, vcc_lo
	global_load_b64 v[7:8], v[1:2], off scope:SCOPE_SYS
	s_wait_loadcnt 0x0
	global_atomic_cmpswap_b64 v[1:2], v6, v[7:10], s[2:3] offset:24 th:TH_ATOMIC_RETURN scope:SCOPE_SYS
	s_wait_loadcnt 0x0
	global_inv scope:SCOPE_SYS
	v_cmpx_ne_u64_e64 v[1:2], v[9:10]
	s_cbranch_execz .LBB6_1724
; %bb.1721:
	s_mov_b32 s6, 0
.LBB6_1722:                             ; =>This Inner Loop Header: Depth=1
	s_sleep 1
	s_clause 0x1
	global_load_b64 v[7:8], v6, s[2:3] offset:40
	global_load_b64 v[11:12], v6, s[2:3]
	v_dual_mov_b32 v10, v2 :: v_dual_mov_b32 v9, v1
	s_wait_loadcnt 0x1
	s_delay_alu instid0(VALU_DEP_1) | instskip(NEXT) | instid1(VALU_DEP_2)
	v_and_b32_e32 v1, v7, v9
	v_and_b32_e32 v7, v8, v10
	s_wait_loadcnt 0x0
	s_delay_alu instid0(VALU_DEP_2) | instskip(NEXT) | instid1(VALU_DEP_1)
	v_mad_co_u64_u32 v[1:2], null, v1, 24, v[11:12]
	v_mad_co_u64_u32 v[7:8], null, v7, 24, v[2:3]
	s_delay_alu instid0(VALU_DEP_1)
	v_mov_b32_e32 v2, v7
	global_load_b64 v[7:8], v[1:2], off scope:SCOPE_SYS
	s_wait_loadcnt 0x0
	global_atomic_cmpswap_b64 v[1:2], v6, v[7:10], s[2:3] offset:24 th:TH_ATOMIC_RETURN scope:SCOPE_SYS
	s_wait_loadcnt 0x0
	global_inv scope:SCOPE_SYS
	v_cmp_eq_u64_e32 vcc_lo, v[1:2], v[9:10]
	s_wait_alu 0xfffe
	s_or_b32 s6, vcc_lo, s6
	s_wait_alu 0xfffe
	s_and_not1_b32 exec_lo, exec_lo, s6
	s_cbranch_execnz .LBB6_1722
; %bb.1723:
	s_or_b32 exec_lo, exec_lo, s6
.LBB6_1724:
	s_wait_alu 0xfffe
	s_or_b32 exec_lo, exec_lo, s5
.LBB6_1725:
	s_wait_alu 0xfffe
	s_or_b32 exec_lo, exec_lo, s4
	v_readfirstlane_b32 s5, v2
	s_wait_loadcnt 0x0
	v_mov_b32_e32 v6, 0
	v_readfirstlane_b32 s4, v1
	s_mov_b32 s6, exec_lo
	s_clause 0x1
	global_load_b64 v[12:13], v6, s[2:3] offset:40
	global_load_b128 v[8:11], v6, s[2:3]
	s_wait_loadcnt 0x1
	s_wait_alu 0xf1ff
	v_and_b32_e32 v13, s5, v13
	v_and_b32_e32 v12, s4, v12
	s_delay_alu instid0(VALU_DEP_2) | instskip(NEXT) | instid1(VALU_DEP_2)
	v_mul_lo_u32 v1, 24, v13
	v_mul_lo_u32 v2, 0, v12
	v_mul_hi_u32 v7, 24, v12
	v_mul_lo_u32 v14, 24, v12
	s_delay_alu instid0(VALU_DEP_3) | instskip(NEXT) | instid1(VALU_DEP_1)
	v_add_nc_u32_e32 v1, v1, v2
	v_add_nc_u32_e32 v2, v1, v7
	s_wait_loadcnt 0x0
	s_delay_alu instid0(VALU_DEP_3) | instskip(SKIP_1) | instid1(VALU_DEP_2)
	v_add_co_u32 v1, vcc_lo, v8, v14
	s_wait_alu 0xfffd
	v_add_co_ci_u32_e64 v2, null, v9, v2, vcc_lo
	s_and_saveexec_b32 s7, s1
	s_cbranch_execz .LBB6_1727
; %bb.1726:
	s_wait_alu 0xfffe
	v_dual_mov_b32 v14, s6 :: v_dual_mov_b32 v15, v6
	v_dual_mov_b32 v16, 2 :: v_dual_mov_b32 v17, 1
	global_store_b128 v[1:2], v[14:17], off offset:8
.LBB6_1727:
	s_wait_alu 0xfffe
	s_or_b32 exec_lo, exec_lo, s7
	v_lshlrev_b64_e32 v[12:13], 12, v[12:13]
	s_mov_b32 s8, 0
	v_and_or_b32 v4, 0xffffff1f, v4, 32
	s_wait_alu 0xfffe
	s_mov_b32 s11, s8
	s_mov_b32 s9, s8
	;; [unrolled: 1-line block ×3, first 2 shown]
	v_add_co_u32 v10, vcc_lo, v10, v12
	s_wait_alu 0xfffd
	v_add_co_ci_u32_e64 v11, null, v11, v13, vcc_lo
	v_mov_b32_e32 v7, v6
	s_delay_alu instid0(VALU_DEP_3) | instskip(SKIP_1) | instid1(VALU_DEP_4)
	v_readfirstlane_b32 s6, v10
	v_add_co_u32 v10, vcc_lo, v10, v34
	v_readfirstlane_b32 s7, v11
	s_wait_alu 0xfffe
	v_dual_mov_b32 v15, s11 :: v_dual_mov_b32 v12, s8
	s_wait_alu 0xfffd
	v_add_co_ci_u32_e64 v11, null, 0, v11, vcc_lo
	v_dual_mov_b32 v14, s10 :: v_dual_mov_b32 v13, s9
	s_clause 0x3
	global_store_b128 v34, v[4:7], s[6:7]
	global_store_b128 v34, v[12:15], s[6:7] offset:16
	global_store_b128 v34, v[12:15], s[6:7] offset:32
	;; [unrolled: 1-line block ×3, first 2 shown]
	s_and_saveexec_b32 s6, s1
	s_cbranch_execz .LBB6_1734
; %bb.1728:
	v_mov_b32_e32 v12, 0
	s_mov_b32 s7, exec_lo
	s_clause 0x1
	global_load_b64 v[15:16], v12, s[2:3] offset:32 scope:SCOPE_SYS
	global_load_b64 v[4:5], v12, s[2:3] offset:40
	v_dual_mov_b32 v13, s4 :: v_dual_mov_b32 v14, s5
	s_wait_loadcnt 0x0
	v_and_b32_e32 v5, s5, v5
	v_and_b32_e32 v4, s4, v4
	s_delay_alu instid0(VALU_DEP_2) | instskip(NEXT) | instid1(VALU_DEP_2)
	v_mul_lo_u32 v5, 24, v5
	v_mul_lo_u32 v6, 0, v4
	v_mul_hi_u32 v7, 24, v4
	v_mul_lo_u32 v4, 24, v4
	s_delay_alu instid0(VALU_DEP_3) | instskip(NEXT) | instid1(VALU_DEP_2)
	v_add_nc_u32_e32 v5, v5, v6
	v_add_co_u32 v8, vcc_lo, v8, v4
	s_delay_alu instid0(VALU_DEP_2) | instskip(SKIP_1) | instid1(VALU_DEP_1)
	v_add_nc_u32_e32 v5, v5, v7
	s_wait_alu 0xfffd
	v_add_co_ci_u32_e64 v9, null, v9, v5, vcc_lo
	global_store_b64 v[8:9], v[15:16], off
	global_wb scope:SCOPE_SYS
	s_wait_storecnt 0x0
	global_atomic_cmpswap_b64 v[6:7], v12, v[13:16], s[2:3] offset:32 th:TH_ATOMIC_RETURN scope:SCOPE_SYS
	s_wait_loadcnt 0x0
	v_cmpx_ne_u64_e64 v[6:7], v[15:16]
	s_cbranch_execz .LBB6_1730
.LBB6_1729:                             ; =>This Inner Loop Header: Depth=1
	v_dual_mov_b32 v4, s4 :: v_dual_mov_b32 v5, s5
	s_sleep 1
	global_store_b64 v[8:9], v[6:7], off
	global_wb scope:SCOPE_SYS
	s_wait_storecnt 0x0
	global_atomic_cmpswap_b64 v[4:5], v12, v[4:7], s[2:3] offset:32 th:TH_ATOMIC_RETURN scope:SCOPE_SYS
	s_wait_loadcnt 0x0
	v_cmp_eq_u64_e32 vcc_lo, v[4:5], v[6:7]
	v_dual_mov_b32 v7, v5 :: v_dual_mov_b32 v6, v4
	s_or_b32 s8, vcc_lo, s8
	s_wait_alu 0xfffe
	s_and_not1_b32 exec_lo, exec_lo, s8
	s_cbranch_execnz .LBB6_1729
.LBB6_1730:
	s_wait_alu 0xfffe
	s_or_b32 exec_lo, exec_lo, s7
	v_mov_b32_e32 v7, 0
	s_mov_b32 s8, exec_lo
	s_mov_b32 s7, exec_lo
	s_wait_alu 0xfffe
	v_mbcnt_lo_u32_b32 v6, s8, 0
	global_load_b64 v[4:5], v7, s[2:3] offset:16
	v_cmpx_eq_u32_e32 0, v6
	s_cbranch_execz .LBB6_1732
; %bb.1731:
	s_bcnt1_i32_b32 s8, s8
	s_wait_alu 0xfffe
	v_mov_b32_e32 v6, s8
	global_wb scope:SCOPE_SYS
	s_wait_loadcnt 0x0
	s_wait_storecnt 0x0
	global_atomic_add_u64 v[4:5], v[6:7], off offset:8 scope:SCOPE_SYS
.LBB6_1732:
	s_or_b32 exec_lo, exec_lo, s7
	s_wait_loadcnt 0x0
	global_load_b64 v[6:7], v[4:5], off offset:16
	s_wait_loadcnt 0x0
	v_cmp_eq_u64_e32 vcc_lo, 0, v[6:7]
	s_cbranch_vccnz .LBB6_1734
; %bb.1733:
	global_load_b32 v4, v[4:5], off offset:24
	v_mov_b32_e32 v5, 0
	s_wait_loadcnt 0x0
	v_readfirstlane_b32 s7, v4
	global_wb scope:SCOPE_SYS
	s_wait_storecnt 0x0
	global_store_b64 v[6:7], v[4:5], off scope:SCOPE_SYS
	s_and_b32 m0, s7, 0xffffff
	s_sendmsg sendmsg(MSG_INTERRUPT)
.LBB6_1734:
	s_wait_alu 0xfffe
	s_or_b32 exec_lo, exec_lo, s6
	s_branch .LBB6_1738
.LBB6_1735:                             ;   in Loop: Header=BB6_1738 Depth=1
	s_wait_alu 0xfffe
	s_or_b32 exec_lo, exec_lo, s6
	s_delay_alu instid0(VALU_DEP_1)
	v_readfirstlane_b32 s6, v4
	s_cmp_eq_u32 s6, 0
	s_cbranch_scc1 .LBB6_1737
; %bb.1736:                             ;   in Loop: Header=BB6_1738 Depth=1
	s_sleep 1
	s_cbranch_execnz .LBB6_1738
	s_branch .LBB6_1740
.LBB6_1737:
	s_branch .LBB6_1740
.LBB6_1738:                             ; =>This Inner Loop Header: Depth=1
	v_mov_b32_e32 v4, 1
	s_and_saveexec_b32 s6, s1
	s_cbranch_execz .LBB6_1735
; %bb.1739:                             ;   in Loop: Header=BB6_1738 Depth=1
	global_load_b32 v4, v[1:2], off offset:20 scope:SCOPE_SYS
	s_wait_loadcnt 0x0
	global_inv scope:SCOPE_SYS
	v_and_b32_e32 v4, 1, v4
	s_branch .LBB6_1735
.LBB6_1740:
	global_load_b64 v[6:7], v[10:11], off
	s_and_saveexec_b32 s6, s1
	s_cbranch_execz .LBB6_1744
; %bb.1741:
	v_mov_b32_e32 v4, 0
	s_clause 0x2
	global_load_b64 v[1:2], v4, s[2:3] offset:40
	global_load_b64 v[12:13], v4, s[2:3] offset:24 scope:SCOPE_SYS
	global_load_b64 v[8:9], v4, s[2:3]
	s_wait_loadcnt 0x2
	v_readfirstlane_b32 s8, v1
	v_readfirstlane_b32 s9, v2
	s_add_nc_u64 s[10:11], s[8:9], 1
	s_wait_alu 0xfffe
	s_add_nc_u64 s[4:5], s[10:11], s[4:5]
	s_wait_alu 0xfffe
	s_cmp_eq_u64 s[4:5], 0
	s_cselect_b32 s5, s11, s5
	s_cselect_b32 s4, s10, s4
	s_wait_alu 0xfffe
	v_mov_b32_e32 v11, s5
	s_and_b64 s[8:9], s[4:5], s[8:9]
	v_mov_b32_e32 v10, s4
	s_wait_alu 0xfffe
	s_mul_u64 s[8:9], s[8:9], 24
	s_wait_loadcnt 0x0
	s_wait_alu 0xfffe
	v_add_co_u32 v1, vcc_lo, v8, s8
	s_wait_alu 0xfffd
	v_add_co_ci_u32_e64 v2, null, s9, v9, vcc_lo
	global_store_b64 v[1:2], v[12:13], off
	global_wb scope:SCOPE_SYS
	s_wait_storecnt 0x0
	global_atomic_cmpswap_b64 v[10:11], v4, v[10:13], s[2:3] offset:24 th:TH_ATOMIC_RETURN scope:SCOPE_SYS
	s_wait_loadcnt 0x0
	v_cmp_ne_u64_e32 vcc_lo, v[10:11], v[12:13]
	s_and_b32 exec_lo, exec_lo, vcc_lo
	s_cbranch_execz .LBB6_1744
; %bb.1742:
	s_mov_b32 s1, 0
.LBB6_1743:                             ; =>This Inner Loop Header: Depth=1
	v_dual_mov_b32 v8, s4 :: v_dual_mov_b32 v9, s5
	s_sleep 1
	global_store_b64 v[1:2], v[10:11], off
	global_wb scope:SCOPE_SYS
	s_wait_storecnt 0x0
	global_atomic_cmpswap_b64 v[8:9], v4, v[8:11], s[2:3] offset:24 th:TH_ATOMIC_RETURN scope:SCOPE_SYS
	s_wait_loadcnt 0x0
	v_cmp_eq_u64_e32 vcc_lo, v[8:9], v[10:11]
	v_dual_mov_b32 v11, v9 :: v_dual_mov_b32 v10, v8
	s_wait_alu 0xfffe
	s_or_b32 s1, vcc_lo, s1
	s_wait_alu 0xfffe
	s_and_not1_b32 exec_lo, exec_lo, s1
	s_cbranch_execnz .LBB6_1743
.LBB6_1744:
	s_wait_alu 0xfffe
	s_or_b32 exec_lo, exec_lo, s6
.LBB6_1745:
	v_readfirstlane_b32 s1, v35
	v_mov_b32_e32 v1, 0
	v_mov_b32_e32 v2, 0
	s_wait_alu 0xf1ff
	s_delay_alu instid0(VALU_DEP_3)
	v_cmp_eq_u32_e64 s1, s1, v35
	s_and_saveexec_b32 s4, s1
	s_cbranch_execz .LBB6_1751
; %bb.1746:
	s_wait_loadcnt 0x0
	v_mov_b32_e32 v4, 0
	s_mov_b32 s5, exec_lo
	global_load_b64 v[10:11], v4, s[2:3] offset:24 scope:SCOPE_SYS
	s_wait_loadcnt 0x0
	global_inv scope:SCOPE_SYS
	s_clause 0x1
	global_load_b64 v[1:2], v4, s[2:3] offset:40
	global_load_b64 v[8:9], v4, s[2:3]
	s_wait_loadcnt 0x1
	v_and_b32_e32 v2, v2, v11
	v_and_b32_e32 v1, v1, v10
	s_delay_alu instid0(VALU_DEP_2) | instskip(NEXT) | instid1(VALU_DEP_2)
	v_mul_lo_u32 v2, 24, v2
	v_mul_lo_u32 v5, 0, v1
	v_mul_hi_u32 v12, 24, v1
	v_mul_lo_u32 v1, 24, v1
	s_delay_alu instid0(VALU_DEP_3) | instskip(SKIP_1) | instid1(VALU_DEP_2)
	v_add_nc_u32_e32 v2, v2, v5
	s_wait_loadcnt 0x0
	v_add_co_u32 v1, vcc_lo, v8, v1
	s_delay_alu instid0(VALU_DEP_2) | instskip(SKIP_1) | instid1(VALU_DEP_1)
	v_add_nc_u32_e32 v2, v2, v12
	s_wait_alu 0xfffd
	v_add_co_ci_u32_e64 v2, null, v9, v2, vcc_lo
	global_load_b64 v[8:9], v[1:2], off scope:SCOPE_SYS
	s_wait_loadcnt 0x0
	global_atomic_cmpswap_b64 v[1:2], v4, v[8:11], s[2:3] offset:24 th:TH_ATOMIC_RETURN scope:SCOPE_SYS
	s_wait_loadcnt 0x0
	global_inv scope:SCOPE_SYS
	v_cmpx_ne_u64_e64 v[1:2], v[10:11]
	s_cbranch_execz .LBB6_1750
; %bb.1747:
	s_mov_b32 s6, 0
.LBB6_1748:                             ; =>This Inner Loop Header: Depth=1
	s_sleep 1
	s_clause 0x1
	global_load_b64 v[8:9], v4, s[2:3] offset:40
	global_load_b64 v[12:13], v4, s[2:3]
	v_dual_mov_b32 v11, v2 :: v_dual_mov_b32 v10, v1
	s_wait_loadcnt 0x1
	s_delay_alu instid0(VALU_DEP_1) | instskip(NEXT) | instid1(VALU_DEP_2)
	v_and_b32_e32 v1, v8, v10
	v_and_b32_e32 v5, v9, v11
	s_wait_loadcnt 0x0
	s_delay_alu instid0(VALU_DEP_2) | instskip(NEXT) | instid1(VALU_DEP_1)
	v_mad_co_u64_u32 v[1:2], null, v1, 24, v[12:13]
	v_mad_co_u64_u32 v[8:9], null, v5, 24, v[2:3]
	s_delay_alu instid0(VALU_DEP_1)
	v_mov_b32_e32 v2, v8
	global_load_b64 v[8:9], v[1:2], off scope:SCOPE_SYS
	s_wait_loadcnt 0x0
	global_atomic_cmpswap_b64 v[1:2], v4, v[8:11], s[2:3] offset:24 th:TH_ATOMIC_RETURN scope:SCOPE_SYS
	s_wait_loadcnt 0x0
	global_inv scope:SCOPE_SYS
	v_cmp_eq_u64_e32 vcc_lo, v[1:2], v[10:11]
	s_wait_alu 0xfffe
	s_or_b32 s6, vcc_lo, s6
	s_wait_alu 0xfffe
	s_and_not1_b32 exec_lo, exec_lo, s6
	s_cbranch_execnz .LBB6_1748
; %bb.1749:
	s_or_b32 exec_lo, exec_lo, s6
.LBB6_1750:
	s_wait_alu 0xfffe
	s_or_b32 exec_lo, exec_lo, s5
.LBB6_1751:
	s_wait_alu 0xfffe
	s_or_b32 exec_lo, exec_lo, s4
	v_readfirstlane_b32 s4, v1
	v_mov_b32_e32 v9, 0
	v_readfirstlane_b32 s5, v2
	s_mov_b32 s6, exec_lo
	s_wait_loadcnt 0x0
	s_clause 0x1
	global_load_b64 v[4:5], v9, s[2:3] offset:40
	global_load_b128 v[10:13], v9, s[2:3]
	s_wait_loadcnt 0x1
	s_wait_alu 0xf1ff
	v_and_b32_e32 v5, s5, v5
	v_and_b32_e32 v4, s4, v4
	s_delay_alu instid0(VALU_DEP_2) | instskip(NEXT) | instid1(VALU_DEP_2)
	v_mul_lo_u32 v1, 24, v5
	v_mul_lo_u32 v2, 0, v4
	v_mul_hi_u32 v8, 24, v4
	v_mul_lo_u32 v14, 24, v4
	s_delay_alu instid0(VALU_DEP_3) | instskip(NEXT) | instid1(VALU_DEP_1)
	v_add_nc_u32_e32 v1, v1, v2
	v_add_nc_u32_e32 v2, v1, v8
	s_wait_loadcnt 0x0
	s_delay_alu instid0(VALU_DEP_3) | instskip(SKIP_1) | instid1(VALU_DEP_2)
	v_add_co_u32 v1, vcc_lo, v10, v14
	s_wait_alu 0xfffd
	v_add_co_ci_u32_e64 v2, null, v11, v2, vcc_lo
	s_and_saveexec_b32 s7, s1
	s_cbranch_execz .LBB6_1753
; %bb.1752:
	s_wait_alu 0xfffe
	v_dual_mov_b32 v8, s6 :: v_dual_mov_b32 v17, 1
	v_dual_mov_b32 v16, 2 :: v_dual_mov_b32 v15, v9
	s_delay_alu instid0(VALU_DEP_2)
	v_mov_b32_e32 v14, v8
	global_store_b128 v[1:2], v[14:17], off offset:8
.LBB6_1753:
	s_wait_alu 0xfffe
	s_or_b32 exec_lo, exec_lo, s7
	v_lshlrev_b64_e32 v[4:5], 12, v[4:5]
	s_mov_b32 s8, 0
	v_and_or_b32 v6, 0xffffff1f, v6, 32
	s_wait_alu 0xfffe
	s_mov_b32 s11, s8
	s_mov_b32 s9, s8
	;; [unrolled: 1-line block ×3, first 2 shown]
	v_add_co_u32 v4, vcc_lo, v12, v4
	s_wait_alu 0xfffd
	v_add_co_ci_u32_e64 v5, null, v13, v5, vcc_lo
	s_wait_alu 0xfffe
	v_dual_mov_b32 v8, v36 :: v_dual_mov_b32 v17, s11
	v_add_co_u32 v12, vcc_lo, v4, v34
	v_readfirstlane_b32 s6, v4
	v_readfirstlane_b32 s7, v5
	s_wait_alu 0xfffd
	v_add_co_ci_u32_e64 v13, null, 0, v5, vcc_lo
	v_dual_mov_b32 v16, s10 :: v_dual_mov_b32 v15, s9
	v_mov_b32_e32 v14, s8
	s_clause 0x3
	global_store_b128 v34, v[6:9], s[6:7]
	global_store_b128 v34, v[14:17], s[6:7] offset:16
	global_store_b128 v34, v[14:17], s[6:7] offset:32
	;; [unrolled: 1-line block ×3, first 2 shown]
	s_and_saveexec_b32 s6, s1
	s_cbranch_execz .LBB6_1760
; %bb.1754:
	v_mov_b32_e32 v14, 0
	s_mov_b32 s7, exec_lo
	s_clause 0x1
	global_load_b64 v[17:18], v14, s[2:3] offset:32 scope:SCOPE_SYS
	global_load_b64 v[4:5], v14, s[2:3] offset:40
	v_dual_mov_b32 v15, s4 :: v_dual_mov_b32 v16, s5
	s_wait_loadcnt 0x0
	v_and_b32_e32 v5, s5, v5
	v_and_b32_e32 v4, s4, v4
	s_delay_alu instid0(VALU_DEP_2) | instskip(NEXT) | instid1(VALU_DEP_2)
	v_mul_lo_u32 v5, 24, v5
	v_mul_lo_u32 v6, 0, v4
	v_mul_hi_u32 v7, 24, v4
	v_mul_lo_u32 v4, 24, v4
	s_delay_alu instid0(VALU_DEP_3) | instskip(NEXT) | instid1(VALU_DEP_2)
	v_add_nc_u32_e32 v5, v5, v6
	v_add_co_u32 v8, vcc_lo, v10, v4
	s_delay_alu instid0(VALU_DEP_2) | instskip(SKIP_1) | instid1(VALU_DEP_1)
	v_add_nc_u32_e32 v5, v5, v7
	s_wait_alu 0xfffd
	v_add_co_ci_u32_e64 v9, null, v11, v5, vcc_lo
	global_store_b64 v[8:9], v[17:18], off
	global_wb scope:SCOPE_SYS
	s_wait_storecnt 0x0
	global_atomic_cmpswap_b64 v[6:7], v14, v[15:18], s[2:3] offset:32 th:TH_ATOMIC_RETURN scope:SCOPE_SYS
	s_wait_loadcnt 0x0
	v_cmpx_ne_u64_e64 v[6:7], v[17:18]
	s_cbranch_execz .LBB6_1756
.LBB6_1755:                             ; =>This Inner Loop Header: Depth=1
	v_dual_mov_b32 v4, s4 :: v_dual_mov_b32 v5, s5
	s_sleep 1
	global_store_b64 v[8:9], v[6:7], off
	global_wb scope:SCOPE_SYS
	s_wait_storecnt 0x0
	global_atomic_cmpswap_b64 v[4:5], v14, v[4:7], s[2:3] offset:32 th:TH_ATOMIC_RETURN scope:SCOPE_SYS
	s_wait_loadcnt 0x0
	v_cmp_eq_u64_e32 vcc_lo, v[4:5], v[6:7]
	v_dual_mov_b32 v7, v5 :: v_dual_mov_b32 v6, v4
	s_or_b32 s8, vcc_lo, s8
	s_wait_alu 0xfffe
	s_and_not1_b32 exec_lo, exec_lo, s8
	s_cbranch_execnz .LBB6_1755
.LBB6_1756:
	s_wait_alu 0xfffe
	s_or_b32 exec_lo, exec_lo, s7
	v_mov_b32_e32 v7, 0
	s_mov_b32 s8, exec_lo
	s_mov_b32 s7, exec_lo
	s_wait_alu 0xfffe
	v_mbcnt_lo_u32_b32 v6, s8, 0
	global_load_b64 v[4:5], v7, s[2:3] offset:16
	v_cmpx_eq_u32_e32 0, v6
	s_cbranch_execz .LBB6_1758
; %bb.1757:
	s_bcnt1_i32_b32 s8, s8
	s_wait_alu 0xfffe
	v_mov_b32_e32 v6, s8
	global_wb scope:SCOPE_SYS
	s_wait_loadcnt 0x0
	s_wait_storecnt 0x0
	global_atomic_add_u64 v[4:5], v[6:7], off offset:8 scope:SCOPE_SYS
.LBB6_1758:
	s_or_b32 exec_lo, exec_lo, s7
	s_wait_loadcnt 0x0
	global_load_b64 v[6:7], v[4:5], off offset:16
	s_wait_loadcnt 0x0
	v_cmp_eq_u64_e32 vcc_lo, 0, v[6:7]
	s_cbranch_vccnz .LBB6_1760
; %bb.1759:
	global_load_b32 v4, v[4:5], off offset:24
	v_mov_b32_e32 v5, 0
	s_wait_loadcnt 0x0
	v_readfirstlane_b32 s7, v4
	global_wb scope:SCOPE_SYS
	s_wait_storecnt 0x0
	global_store_b64 v[6:7], v[4:5], off scope:SCOPE_SYS
	s_and_b32 m0, s7, 0xffffff
	s_sendmsg sendmsg(MSG_INTERRUPT)
.LBB6_1760:
	s_wait_alu 0xfffe
	s_or_b32 exec_lo, exec_lo, s6
	s_branch .LBB6_1764
.LBB6_1761:                             ;   in Loop: Header=BB6_1764 Depth=1
	s_wait_alu 0xfffe
	s_or_b32 exec_lo, exec_lo, s6
	s_delay_alu instid0(VALU_DEP_1)
	v_readfirstlane_b32 s6, v4
	s_cmp_eq_u32 s6, 0
	s_cbranch_scc1 .LBB6_1763
; %bb.1762:                             ;   in Loop: Header=BB6_1764 Depth=1
	s_sleep 1
	s_cbranch_execnz .LBB6_1764
	s_branch .LBB6_1766
.LBB6_1763:
	s_branch .LBB6_1766
.LBB6_1764:                             ; =>This Inner Loop Header: Depth=1
	v_mov_b32_e32 v4, 1
	s_and_saveexec_b32 s6, s1
	s_cbranch_execz .LBB6_1761
; %bb.1765:                             ;   in Loop: Header=BB6_1764 Depth=1
	global_load_b32 v4, v[1:2], off offset:20 scope:SCOPE_SYS
	s_wait_loadcnt 0x0
	global_inv scope:SCOPE_SYS
	v_and_b32_e32 v4, 1, v4
	s_branch .LBB6_1761
.LBB6_1766:
	global_load_b64 v[1:2], v[12:13], off
	s_and_saveexec_b32 s6, s1
	s_cbranch_execz .LBB6_1770
; %bb.1767:
	v_mov_b32_e32 v10, 0
	s_clause 0x2
	global_load_b64 v[4:5], v10, s[2:3] offset:40
	global_load_b64 v[13:14], v10, s[2:3] offset:24 scope:SCOPE_SYS
	global_load_b64 v[6:7], v10, s[2:3]
	s_wait_loadcnt 0x2
	v_readfirstlane_b32 s8, v4
	v_readfirstlane_b32 s9, v5
	s_add_nc_u64 s[10:11], s[8:9], 1
	s_wait_alu 0xfffe
	s_add_nc_u64 s[4:5], s[10:11], s[4:5]
	s_wait_alu 0xfffe
	s_cmp_eq_u64 s[4:5], 0
	s_cselect_b32 s5, s11, s5
	s_cselect_b32 s4, s10, s4
	s_wait_alu 0xfffe
	v_mov_b32_e32 v12, s5
	s_and_b64 s[8:9], s[4:5], s[8:9]
	v_mov_b32_e32 v11, s4
	s_wait_alu 0xfffe
	s_mul_u64 s[8:9], s[8:9], 24
	s_wait_loadcnt 0x0
	s_wait_alu 0xfffe
	v_add_co_u32 v8, vcc_lo, v6, s8
	s_wait_alu 0xfffd
	v_add_co_ci_u32_e64 v9, null, s9, v7, vcc_lo
	global_store_b64 v[8:9], v[13:14], off
	global_wb scope:SCOPE_SYS
	s_wait_storecnt 0x0
	global_atomic_cmpswap_b64 v[6:7], v10, v[11:14], s[2:3] offset:24 th:TH_ATOMIC_RETURN scope:SCOPE_SYS
	s_wait_loadcnt 0x0
	v_cmp_ne_u64_e32 vcc_lo, v[6:7], v[13:14]
	s_and_b32 exec_lo, exec_lo, vcc_lo
	s_cbranch_execz .LBB6_1770
; %bb.1768:
	s_mov_b32 s1, 0
.LBB6_1769:                             ; =>This Inner Loop Header: Depth=1
	v_dual_mov_b32 v4, s4 :: v_dual_mov_b32 v5, s5
	s_sleep 1
	global_store_b64 v[8:9], v[6:7], off
	global_wb scope:SCOPE_SYS
	s_wait_storecnt 0x0
	global_atomic_cmpswap_b64 v[4:5], v10, v[4:7], s[2:3] offset:24 th:TH_ATOMIC_RETURN scope:SCOPE_SYS
	s_wait_loadcnt 0x0
	v_cmp_eq_u64_e32 vcc_lo, v[4:5], v[6:7]
	v_dual_mov_b32 v7, v5 :: v_dual_mov_b32 v6, v4
	s_wait_alu 0xfffe
	s_or_b32 s1, vcc_lo, s1
	s_wait_alu 0xfffe
	s_and_not1_b32 exec_lo, exec_lo, s1
	s_cbranch_execnz .LBB6_1769
.LBB6_1770:
	s_wait_alu 0xfffe
	s_or_b32 exec_lo, exec_lo, s6
	v_readfirstlane_b32 s1, v35
	v_mov_b32_e32 v9, 0
	v_mov_b32_e32 v10, 0
	s_wait_alu 0xf1ff
	s_delay_alu instid0(VALU_DEP_3)
	v_cmp_eq_u32_e64 s1, s1, v35
	s_and_saveexec_b32 s4, s1
	s_cbranch_execz .LBB6_1776
; %bb.1771:
	v_mov_b32_e32 v4, 0
	s_mov_b32 s5, exec_lo
	global_load_b64 v[7:8], v4, s[2:3] offset:24 scope:SCOPE_SYS
	s_wait_loadcnt 0x0
	global_inv scope:SCOPE_SYS
	s_clause 0x1
	global_load_b64 v[5:6], v4, s[2:3] offset:40
	global_load_b64 v[9:10], v4, s[2:3]
	s_wait_loadcnt 0x1
	v_and_b32_e32 v6, v6, v8
	v_and_b32_e32 v5, v5, v7
	s_delay_alu instid0(VALU_DEP_2) | instskip(NEXT) | instid1(VALU_DEP_2)
	v_mul_lo_u32 v6, 24, v6
	v_mul_lo_u32 v11, 0, v5
	v_mul_hi_u32 v12, 24, v5
	v_mul_lo_u32 v5, 24, v5
	s_delay_alu instid0(VALU_DEP_3) | instskip(SKIP_1) | instid1(VALU_DEP_2)
	v_add_nc_u32_e32 v6, v6, v11
	s_wait_loadcnt 0x0
	v_add_co_u32 v5, vcc_lo, v9, v5
	s_delay_alu instid0(VALU_DEP_2) | instskip(SKIP_1) | instid1(VALU_DEP_1)
	v_add_nc_u32_e32 v6, v6, v12
	s_wait_alu 0xfffd
	v_add_co_ci_u32_e64 v6, null, v10, v6, vcc_lo
	global_load_b64 v[5:6], v[5:6], off scope:SCOPE_SYS
	s_wait_loadcnt 0x0
	global_atomic_cmpswap_b64 v[9:10], v4, v[5:8], s[2:3] offset:24 th:TH_ATOMIC_RETURN scope:SCOPE_SYS
	s_wait_loadcnt 0x0
	global_inv scope:SCOPE_SYS
	v_cmpx_ne_u64_e64 v[9:10], v[7:8]
	s_cbranch_execz .LBB6_1775
; %bb.1772:
	s_mov_b32 s6, 0
.LBB6_1773:                             ; =>This Inner Loop Header: Depth=1
	s_sleep 1
	s_clause 0x1
	global_load_b64 v[5:6], v4, s[2:3] offset:40
	global_load_b64 v[11:12], v4, s[2:3]
	v_dual_mov_b32 v7, v9 :: v_dual_mov_b32 v8, v10
	s_wait_loadcnt 0x1
	s_delay_alu instid0(VALU_DEP_1) | instskip(NEXT) | instid1(VALU_DEP_2)
	v_and_b32_e32 v5, v5, v7
	v_and_b32_e32 v6, v6, v8
	s_wait_loadcnt 0x0
	s_delay_alu instid0(VALU_DEP_2) | instskip(NEXT) | instid1(VALU_DEP_1)
	v_mad_co_u64_u32 v[9:10], null, v5, 24, v[11:12]
	v_mov_b32_e32 v5, v10
	s_delay_alu instid0(VALU_DEP_1) | instskip(NEXT) | instid1(VALU_DEP_1)
	v_mad_co_u64_u32 v[5:6], null, v6, 24, v[5:6]
	v_mov_b32_e32 v10, v5
	global_load_b64 v[5:6], v[9:10], off scope:SCOPE_SYS
	s_wait_loadcnt 0x0
	global_atomic_cmpswap_b64 v[9:10], v4, v[5:8], s[2:3] offset:24 th:TH_ATOMIC_RETURN scope:SCOPE_SYS
	s_wait_loadcnt 0x0
	global_inv scope:SCOPE_SYS
	v_cmp_eq_u64_e32 vcc_lo, v[9:10], v[7:8]
	s_wait_alu 0xfffe
	s_or_b32 s6, vcc_lo, s6
	s_wait_alu 0xfffe
	s_and_not1_b32 exec_lo, exec_lo, s6
	s_cbranch_execnz .LBB6_1773
; %bb.1774:
	s_or_b32 exec_lo, exec_lo, s6
.LBB6_1775:
	s_wait_alu 0xfffe
	s_or_b32 exec_lo, exec_lo, s5
.LBB6_1776:
	s_wait_alu 0xfffe
	s_or_b32 exec_lo, exec_lo, s4
	v_readfirstlane_b32 s4, v9
	v_mov_b32_e32 v4, 0
	v_readfirstlane_b32 s5, v10
	s_mov_b32 s6, exec_lo
	s_clause 0x1
	global_load_b64 v[11:12], v4, s[2:3] offset:40
	global_load_b128 v[5:8], v4, s[2:3]
	s_wait_loadcnt 0x1
	s_wait_alu 0xf1ff
	v_and_b32_e32 v12, s5, v12
	v_and_b32_e32 v11, s4, v11
	s_delay_alu instid0(VALU_DEP_2) | instskip(NEXT) | instid1(VALU_DEP_2)
	v_mul_lo_u32 v9, 24, v12
	v_mul_lo_u32 v10, 0, v11
	v_mul_hi_u32 v13, 24, v11
	v_mul_lo_u32 v14, 24, v11
	s_delay_alu instid0(VALU_DEP_3) | instskip(NEXT) | instid1(VALU_DEP_1)
	v_add_nc_u32_e32 v9, v9, v10
	v_add_nc_u32_e32 v10, v9, v13
	s_wait_loadcnt 0x0
	s_delay_alu instid0(VALU_DEP_3) | instskip(SKIP_1) | instid1(VALU_DEP_2)
	v_add_co_u32 v9, vcc_lo, v5, v14
	s_wait_alu 0xfffd
	v_add_co_ci_u32_e64 v10, null, v6, v10, vcc_lo
	s_and_saveexec_b32 s7, s1
	s_cbranch_execz .LBB6_1778
; %bb.1777:
	s_wait_alu 0xfffe
	v_dual_mov_b32 v13, s6 :: v_dual_mov_b32 v14, v4
	v_dual_mov_b32 v15, 2 :: v_dual_mov_b32 v16, 1
	global_store_b128 v[9:10], v[13:16], off offset:8
.LBB6_1778:
	s_wait_alu 0xfffe
	s_or_b32 exec_lo, exec_lo, s7
	v_lshlrev_b64_e32 v[11:12], 12, v[11:12]
	s_mov_b32 s8, 0
	v_and_or_b32 v1, 0xffffff1d, v1, 34
	s_wait_alu 0xfffe
	s_mov_b32 s11, s8
	s_mov_b32 s9, s8
	s_mov_b32 s10, s8
	v_add_co_u32 v7, vcc_lo, v7, v11
	s_wait_alu 0xfffd
	v_add_co_ci_u32_e64 v8, null, v8, v12, vcc_lo
	s_wait_alu 0xfffe
	v_dual_mov_b32 v14, s11 :: v_dual_mov_b32 v13, s10
	v_readfirstlane_b32 s6, v7
	s_delay_alu instid0(VALU_DEP_3)
	v_readfirstlane_b32 s7, v8
	v_dual_mov_b32 v12, s9 :: v_dual_mov_b32 v11, s8
	s_clause 0x3
	global_store_b128 v34, v[1:4], s[6:7]
	global_store_b128 v34, v[11:14], s[6:7] offset:16
	global_store_b128 v34, v[11:14], s[6:7] offset:32
	;; [unrolled: 1-line block ×3, first 2 shown]
	s_and_saveexec_b32 s6, s1
	s_cbranch_execz .LBB6_1785
; %bb.1779:
	v_mov_b32_e32 v7, 0
	s_mov_b32 s7, exec_lo
	s_clause 0x1
	global_load_b64 v[13:14], v7, s[2:3] offset:32 scope:SCOPE_SYS
	global_load_b64 v[1:2], v7, s[2:3] offset:40
	v_dual_mov_b32 v12, s5 :: v_dual_mov_b32 v11, s4
	s_wait_loadcnt 0x0
	v_and_b32_e32 v2, s5, v2
	v_and_b32_e32 v1, s4, v1
	s_delay_alu instid0(VALU_DEP_2) | instskip(NEXT) | instid1(VALU_DEP_2)
	v_mul_lo_u32 v2, 24, v2
	v_mul_lo_u32 v3, 0, v1
	v_mul_hi_u32 v4, 24, v1
	v_mul_lo_u32 v1, 24, v1
	s_delay_alu instid0(VALU_DEP_3) | instskip(NEXT) | instid1(VALU_DEP_2)
	v_add_nc_u32_e32 v2, v2, v3
	v_add_co_u32 v5, vcc_lo, v5, v1
	s_delay_alu instid0(VALU_DEP_2) | instskip(SKIP_1) | instid1(VALU_DEP_1)
	v_add_nc_u32_e32 v2, v2, v4
	s_wait_alu 0xfffd
	v_add_co_ci_u32_e64 v6, null, v6, v2, vcc_lo
	global_store_b64 v[5:6], v[13:14], off
	global_wb scope:SCOPE_SYS
	s_wait_storecnt 0x0
	global_atomic_cmpswap_b64 v[3:4], v7, v[11:14], s[2:3] offset:32 th:TH_ATOMIC_RETURN scope:SCOPE_SYS
	s_wait_loadcnt 0x0
	v_cmpx_ne_u64_e64 v[3:4], v[13:14]
	s_cbranch_execz .LBB6_1781
.LBB6_1780:                             ; =>This Inner Loop Header: Depth=1
	v_dual_mov_b32 v1, s4 :: v_dual_mov_b32 v2, s5
	s_sleep 1
	global_store_b64 v[5:6], v[3:4], off
	global_wb scope:SCOPE_SYS
	s_wait_storecnt 0x0
	global_atomic_cmpswap_b64 v[1:2], v7, v[1:4], s[2:3] offset:32 th:TH_ATOMIC_RETURN scope:SCOPE_SYS
	s_wait_loadcnt 0x0
	v_cmp_eq_u64_e32 vcc_lo, v[1:2], v[3:4]
	v_dual_mov_b32 v4, v2 :: v_dual_mov_b32 v3, v1
	s_or_b32 s8, vcc_lo, s8
	s_wait_alu 0xfffe
	s_and_not1_b32 exec_lo, exec_lo, s8
	s_cbranch_execnz .LBB6_1780
.LBB6_1781:
	s_wait_alu 0xfffe
	s_or_b32 exec_lo, exec_lo, s7
	v_mov_b32_e32 v4, 0
	s_mov_b32 s8, exec_lo
	s_mov_b32 s7, exec_lo
	s_wait_alu 0xfffe
	v_mbcnt_lo_u32_b32 v3, s8, 0
	global_load_b64 v[1:2], v4, s[2:3] offset:16
	v_cmpx_eq_u32_e32 0, v3
	s_cbranch_execz .LBB6_1783
; %bb.1782:
	s_bcnt1_i32_b32 s8, s8
	s_wait_alu 0xfffe
	v_mov_b32_e32 v3, s8
	global_wb scope:SCOPE_SYS
	s_wait_loadcnt 0x0
	s_wait_storecnt 0x0
	global_atomic_add_u64 v[1:2], v[3:4], off offset:8 scope:SCOPE_SYS
.LBB6_1783:
	s_or_b32 exec_lo, exec_lo, s7
	s_wait_loadcnt 0x0
	global_load_b64 v[3:4], v[1:2], off offset:16
	s_wait_loadcnt 0x0
	v_cmp_eq_u64_e32 vcc_lo, 0, v[3:4]
	s_cbranch_vccnz .LBB6_1785
; %bb.1784:
	global_load_b32 v1, v[1:2], off offset:24
	v_mov_b32_e32 v2, 0
	s_wait_loadcnt 0x0
	v_readfirstlane_b32 s7, v1
	global_wb scope:SCOPE_SYS
	s_wait_storecnt 0x0
	global_store_b64 v[3:4], v[1:2], off scope:SCOPE_SYS
	s_and_b32 m0, s7, 0xffffff
	s_sendmsg sendmsg(MSG_INTERRUPT)
.LBB6_1785:
	s_wait_alu 0xfffe
	s_or_b32 exec_lo, exec_lo, s6
	s_branch .LBB6_1789
.LBB6_1786:                             ;   in Loop: Header=BB6_1789 Depth=1
	s_wait_alu 0xfffe
	s_or_b32 exec_lo, exec_lo, s6
	s_delay_alu instid0(VALU_DEP_1)
	v_readfirstlane_b32 s6, v1
	s_cmp_eq_u32 s6, 0
	s_cbranch_scc1 .LBB6_1788
; %bb.1787:                             ;   in Loop: Header=BB6_1789 Depth=1
	s_sleep 1
	s_cbranch_execnz .LBB6_1789
	s_branch .LBB6_1791
.LBB6_1788:
	s_branch .LBB6_1791
.LBB6_1789:                             ; =>This Inner Loop Header: Depth=1
	v_mov_b32_e32 v1, 1
	s_and_saveexec_b32 s6, s1
	s_cbranch_execz .LBB6_1786
; %bb.1790:                             ;   in Loop: Header=BB6_1789 Depth=1
	global_load_b32 v1, v[9:10], off offset:20 scope:SCOPE_SYS
	s_wait_loadcnt 0x0
	global_inv scope:SCOPE_SYS
	v_and_b32_e32 v1, 1, v1
	s_branch .LBB6_1786
.LBB6_1791:
	s_and_b32 exec_lo, exec_lo, s1
	s_cbranch_execz .LBB6_1795
; %bb.1792:
	v_mov_b32_e32 v7, 0
	s_clause 0x2
	global_load_b64 v[1:2], v7, s[2:3] offset:40
	global_load_b64 v[10:11], v7, s[2:3] offset:24 scope:SCOPE_SYS
	global_load_b64 v[3:4], v7, s[2:3]
	s_wait_loadcnt 0x2
	v_readfirstlane_b32 s6, v1
	v_readfirstlane_b32 s7, v2
	s_add_nc_u64 s[8:9], s[6:7], 1
	s_wait_alu 0xfffe
	s_add_nc_u64 s[4:5], s[8:9], s[4:5]
	s_wait_alu 0xfffe
	s_cmp_eq_u64 s[4:5], 0
	s_cselect_b32 s5, s9, s5
	s_cselect_b32 s4, s8, s4
	s_wait_alu 0xfffe
	v_mov_b32_e32 v9, s5
	s_and_b64 s[6:7], s[4:5], s[6:7]
	v_mov_b32_e32 v8, s4
	s_wait_alu 0xfffe
	s_mul_u64 s[6:7], s[6:7], 24
	s_wait_loadcnt 0x0
	s_wait_alu 0xfffe
	v_add_co_u32 v5, vcc_lo, v3, s6
	s_wait_alu 0xfffd
	v_add_co_ci_u32_e64 v6, null, s7, v4, vcc_lo
	global_store_b64 v[5:6], v[10:11], off
	global_wb scope:SCOPE_SYS
	s_wait_storecnt 0x0
	global_atomic_cmpswap_b64 v[3:4], v7, v[8:11], s[2:3] offset:24 th:TH_ATOMIC_RETURN scope:SCOPE_SYS
	s_wait_loadcnt 0x0
	v_cmp_ne_u64_e32 vcc_lo, v[3:4], v[10:11]
	s_and_b32 exec_lo, exec_lo, vcc_lo
	s_cbranch_execz .LBB6_1795
; %bb.1793:
	s_mov_b32 s1, 0
.LBB6_1794:                             ; =>This Inner Loop Header: Depth=1
	v_dual_mov_b32 v1, s4 :: v_dual_mov_b32 v2, s5
	s_sleep 1
	global_store_b64 v[5:6], v[3:4], off
	global_wb scope:SCOPE_SYS
	s_wait_storecnt 0x0
	global_atomic_cmpswap_b64 v[1:2], v7, v[1:4], s[2:3] offset:24 th:TH_ATOMIC_RETURN scope:SCOPE_SYS
	s_wait_loadcnt 0x0
	v_cmp_eq_u64_e32 vcc_lo, v[1:2], v[3:4]
	v_dual_mov_b32 v4, v2 :: v_dual_mov_b32 v3, v1
	s_wait_alu 0xfffe
	s_or_b32 s1, vcc_lo, s1
	s_wait_alu 0xfffe
	s_and_not1_b32 exec_lo, exec_lo, s1
	s_cbranch_execnz .LBB6_1794
.LBB6_1795:
	s_wait_alu 0xfffe
	s_or_b32 exec_lo, exec_lo, s16
	v_or_b32_e32 v0, v0, v41
	s_xor_b32 s0, s0, -1
	s_mov_b32 s19, 0
                                        ; implicit-def: $vgpr41
	s_delay_alu instid0(VALU_DEP_1)
	v_cmp_lt_i32_e32 vcc_lo, -1, v0
	s_wait_alu 0xfffe
	s_and_b32 s0, vcc_lo, s0
	s_wait_alu 0xfffe
	s_and_saveexec_b32 s1, s0
	s_wait_alu 0xfffe
	s_xor_b32 s0, exec_lo, s1
	s_cbranch_execz .LBB6_1797
; %bb.1796:
	flat_load_b32 v0, v[42:43]
	v_lshl_or_b32 v29, v33, 1, 1
	s_mov_b32 s19, exec_lo
	s_wait_loadcnt_dscnt 0x0
	v_ashrrev_i32_e32 v1, 31, v0
	v_add_nc_u32_e32 v3, 1, v0
	v_lshl_or_b32 v41, v0, 1, 1
	s_delay_alu instid0(VALU_DEP_3) | instskip(NEXT) | instid1(VALU_DEP_1)
	v_lshlrev_b64_e32 v[1:2], 3, v[0:1]
	v_add_co_u32 v1, vcc_lo, v42, v1
	s_wait_alu 0xfffd
	s_delay_alu instid0(VALU_DEP_2)
	v_add_co_ci_u32_e64 v2, null, v43, v2, vcc_lo
	s_clause 0x1
	flat_store_b32 v[42:43], v3
	flat_store_b64 v[1:2], v[29:30] offset:8
.LBB6_1797:
	s_wait_alu 0xfffe
	s_or_saveexec_b32 s20, s0
	s_mov_b32 s0, s17
	s_wait_alu 0xfffe
	s_xor_b32 exec_lo, exec_lo, s20
	s_cbranch_execz .LBB6_1799
; %bb.1798:
	s_getpc_b64 s[0:1]
	s_wait_alu 0xfffe
	s_sext_i32_i16 s1, s1
	s_add_co_u32 s0, s0, .str.46@rel32@lo+12
	s_wait_alu 0xfffe
	s_add_co_ci_u32 s1, s1, .str.46@rel32@hi+24
	s_getpc_b64 s[2:3]
	s_wait_alu 0xfffe
	s_sext_i32_i16 s3, s3
	s_add_co_u32 s2, s2, .str.44@rel32@lo+12
	s_wait_alu 0xfffe
	s_add_co_ci_u32 s3, s3, .str.44@rel32@hi+24
	s_getpc_b64 s[4:5]
	s_wait_alu 0xfffe
	s_sext_i32_i16 s5, s5
	s_add_co_u32 s4, s4, __PRETTY_FUNCTION__._ZN8subgUtil18formAndNodeKeyFlagEiii@rel32@lo+12
	s_wait_alu 0xfffe
	s_add_co_ci_u32 s5, s5, __PRETTY_FUNCTION__._ZN8subgUtil18formAndNodeKeyFlagEiii@rel32@hi+24
	v_dual_mov_b32 v0, s0 :: v_dual_mov_b32 v1, s1
	v_dual_mov_b32 v2, s2 :: v_dual_mov_b32 v3, s3
	;; [unrolled: 1-line block ×3, first 2 shown]
	s_wait_alu 0xfffe
	v_mov_b32_e32 v6, s5
	s_getpc_b64 s[6:7]
	s_wait_alu 0xfffe
	s_sext_i32_i16 s7, s7
	s_add_co_u32 s6, s6, __assert_fail@rel32@lo+12
	s_wait_alu 0xfffe
	s_add_co_ci_u32 s7, s7, __assert_fail@rel32@hi+24
	s_mov_b64 s[8:9], s[52:53]
	s_wait_alu 0xfffe
	s_swappc_b64 s[30:31], s[6:7]
	s_or_b32 s0, s17, exec_lo
.LBB6_1799:
	s_or_b32 exec_lo, exec_lo, s20
	s_delay_alu instid0(SALU_CYCLE_1)
	s_and_not1_b32 s1, s17, exec_lo
	s_wait_alu 0xfffe
	s_and_b32 s0, s0, exec_lo
	s_wait_alu 0xfffe
	s_or_b32 s17, s1, s0
	s_and_b32 s1, s19, exec_lo
.LBB6_1800:
	s_or_b32 exec_lo, exec_lo, s18
	s_delay_alu instid0(SALU_CYCLE_1)
	s_and_not1_b32 s0, s34, exec_lo
	s_wait_alu 0xfffe
	s_and_b32 s2, s17, exec_lo
	s_or_not1_b32 s1, s1, exec_lo
	s_wait_alu 0xfffe
	s_or_b32 s0, s0, s2
.LBB6_1801:
	s_wait_alu 0xfffe
	s_or_b32 exec_lo, exec_lo, s37
	s_delay_alu instid0(SALU_CYCLE_1)
	s_and_b32 s3, s0, exec_lo
	v_readlane_b32 s0, v59, 7
	s_and_not1_b32 s2, s34, exec_lo
	s_and_b32 s1, s1, exec_lo
	s_wait_alu 0xfffe
	s_or_b32 s18, s2, s3
	s_and_not1_b32 s0, s0, exec_lo
	s_wait_alu 0xfffe
	s_or_b32 s17, s0, s1
.LBB6_1802:
	s_wait_alu 0xfffe
	s_and_not1_saveexec_b32 s19, s36
	s_cbranch_execz .LBB6_1804
; %bb.1803:
	s_getpc_b64 s[0:1]
	s_wait_alu 0xfffe
	s_sext_i32_i16 s1, s1
	s_add_co_u32 s0, s0, .str.46@rel32@lo+12
	s_wait_alu 0xfffe
	s_add_co_ci_u32 s1, s1, .str.46@rel32@hi+24
	s_getpc_b64 s[2:3]
	s_wait_alu 0xfffe
	s_sext_i32_i16 s3, s3
	s_add_co_u32 s2, s2, .str.44@rel32@lo+12
	s_wait_alu 0xfffe
	s_add_co_ci_u32 s3, s3, .str.44@rel32@hi+24
	s_getpc_b64 s[4:5]
	s_wait_alu 0xfffe
	s_sext_i32_i16 s5, s5
	s_add_co_u32 s4, s4, __PRETTY_FUNCTION__._ZN8subgUtil18formAndNodeKeyFlagEiii@rel32@lo+12
	s_wait_alu 0xfffe
	s_add_co_ci_u32 s5, s5, __PRETTY_FUNCTION__._ZN8subgUtil18formAndNodeKeyFlagEiii@rel32@hi+24
	v_dual_mov_b32 v0, s0 :: v_dual_mov_b32 v1, s1
	v_dual_mov_b32 v2, s2 :: v_dual_mov_b32 v3, s3
	;; [unrolled: 1-line block ×3, first 2 shown]
	s_wait_alu 0xfffe
	v_mov_b32_e32 v6, s5
	s_getpc_b64 s[6:7]
	s_wait_alu 0xfffe
	s_sext_i32_i16 s7, s7
	s_add_co_u32 s6, s6, __assert_fail@rel32@lo+12
	s_wait_alu 0xfffe
	s_add_co_ci_u32 s7, s7, __assert_fail@rel32@hi+24
	s_mov_b64 s[8:9], s[52:53]
	s_wait_alu 0xfffe
	s_swappc_b64 s[30:31], s[6:7]
	s_or_b32 s18, s18, exec_lo
.LBB6_1804:
	s_wait_alu 0xfffe
	s_or_b32 exec_lo, exec_lo, s19
	v_readlane_b32 s36, v59, 7
	s_and_not1_b32 s0, s34, exec_lo
	v_readlane_b32 s34, v59, 5
	s_and_b32 s1, s18, exec_lo
	s_and_b32 s3, s17, exec_lo
	s_and_not1_b32 s2, s36, exec_lo
	s_wait_alu 0xfffe
	s_or_b32 s0, s0, s1
	s_or_b32 s1, s2, s3
.LBB6_1805:
	s_or_b32 exec_lo, exec_lo, s35
	s_delay_alu instid0(SALU_CYCLE_1)
	s_and_not1_b32 s2, s34, exec_lo
	s_wait_alu 0xfffe
	s_and_b32 s0, s0, exec_lo
	s_and_not1_b32 s3, s36, exec_lo
	s_and_b32 s1, s1, exec_lo
	s_wait_alu 0xfffe
	s_or_b32 s34, s2, s0
	s_or_b32 s36, s3, s1
	s_mov_b32 s28, s49
	s_mov_b32 s20, s67
	v_readlane_b32 s21, v59, 9
	v_readlane_b32 s22, v59, 8
	s_mov_b32 s18, s68
	v_readlane_b32 s25, v59, 6
	s_mov_b32 s26, s69
	;; [unrolled: 2-line block ×3, first 2 shown]
	s_mov_b32 s29, 0
	v_readlane_b32 s40, v59, 14
	v_readlane_b32 s41, v59, 2
	;; [unrolled: 1-line block ×11, first 2 shown]
.LBB6_1806:
	s_wait_alu 0xfffe
	s_delay_alu instid0(VALU_DEP_1)
	s_or_b32 exec_lo, exec_lo, s0
	s_delay_alu instid0(VALU_DEP_2) | instid1(SALU_CYCLE_1)
	s_and_not1_b32 s0, s1, exec_lo
	s_and_b32 s1, s34, exec_lo
	s_and_b32 s2, s36, exec_lo
	s_wait_alu 0xfffe
	s_or_b32 s1, s0, s1
	v_readlane_b32 s0, v59, 1
.LBB6_1807:
	s_delay_alu instid0(VALU_DEP_1) | instskip(NEXT) | instid1(SALU_CYCLE_1)
	s_or_b32 exec_lo, exec_lo, s0
	s_and_not1_b32 s0, s24, exec_lo
	s_wait_alu 0xfffe
	s_and_b32 s1, s1, exec_lo
	s_wait_alu 0xfffe
	s_or_b32 s24, s0, s1
	s_and_b32 s0, s2, exec_lo
.LBB6_1808:
	s_or_b32 exec_lo, exec_lo, s45
	s_delay_alu instid0(SALU_CYCLE_1)
	s_and_not1_b32 s1, s23, exec_lo
	s_wait_alu 0xfffe
	s_and_b32 s2, s24, exec_lo
	s_wait_alu 0xfffe
	s_or_b32 s23, s1, s2
	s_and_b32 s1, s0, exec_lo
.LBB6_1809:
	s_wait_alu 0xfffe
	s_or_b32 exec_lo, exec_lo, s44
	s_delay_alu instid0(SALU_CYCLE_1)
	s_and_not1_b32 s0, s17, exec_lo
	s_and_b32 s2, s23, exec_lo
	s_and_b32 s23, s1, exec_lo
	s_wait_alu 0xfffe
	s_or_b32 s24, s0, s2
.LBB6_1810:
	s_wait_alu 0xfffe
	s_and_not1_saveexec_b32 s43, s43
	s_cbranch_execz .LBB6_1812
; %bb.1811:
	s_getpc_b64 s[0:1]
	s_wait_alu 0xfffe
	s_sext_i32_i16 s1, s1
	s_add_co_u32 s0, s0, .str.39@rel32@lo+12
	s_wait_alu 0xfffe
	s_add_co_ci_u32 s1, s1, .str.39@rel32@hi+24
	s_getpc_b64 s[2:3]
	s_wait_alu 0xfffe
	s_sext_i32_i16 s3, s3
	s_add_co_u32 s2, s2, .str.31@rel32@lo+12
	s_wait_alu 0xfffe
	s_add_co_ci_u32 s3, s3, .str.31@rel32@hi+24
	s_getpc_b64 s[4:5]
	s_wait_alu 0xfffe
	s_sext_i32_i16 s5, s5
	s_add_co_u32 s4, s4, __PRETTY_FUNCTION__._ZN3sop17sopDivideInternalEPNS_3SopES1_S1_S1_P7VecsMemIjLi8192EE@rel32@lo+12
	s_wait_alu 0xfffe
	s_add_co_ci_u32 s5, s5, __PRETTY_FUNCTION__._ZN3sop17sopDivideInternalEPNS_3SopES1_S1_S1_P7VecsMemIjLi8192EE@rel32@hi+24
	v_dual_mov_b32 v0, s0 :: v_dual_mov_b32 v1, s1
	v_dual_mov_b32 v2, s2 :: v_dual_mov_b32 v3, s3
	;; [unrolled: 1-line block ×3, first 2 shown]
	s_wait_alu 0xfffe
	v_mov_b32_e32 v6, s5
	s_getpc_b64 s[6:7]
	s_wait_alu 0xfffe
	s_sext_i32_i16 s7, s7
	s_add_co_u32 s6, s6, __assert_fail@rel32@lo+12
	s_wait_alu 0xfffe
	s_add_co_ci_u32 s7, s7, __assert_fail@rel32@hi+24
	s_mov_b64 s[8:9], s[52:53]
	s_wait_alu 0xfffc
	s_swappc_b64 s[30:31], s[6:7]
	s_or_b32 s24, s24, exec_lo
.LBB6_1812:
	s_wait_alu 0xfffe
	s_or_b32 exec_lo, exec_lo, s43
	s_delay_alu instid0(SALU_CYCLE_1)
	s_and_not1_b32 s0, s17, exec_lo
	s_and_b32 s1, s24, exec_lo
	s_wait_alu 0xfffe
	s_or_b32 s17, s0, s1
	s_and_b32 s1, s23, exec_lo
.LBB6_1813:
	s_wait_alu 0xfffe
	s_or_b32 exec_lo, exec_lo, s42
	s_delay_alu instid0(SALU_CYCLE_1)
	s_and_not1_b32 s0, s19, exec_lo
	s_and_b32 s2, s17, exec_lo
	s_and_b32 s17, s1, exec_lo
	s_wait_alu 0xfffe
	s_or_b32 s23, s0, s2
.LBB6_1814:
	s_wait_alu 0xfffe
	s_and_not1_saveexec_b32 s24, s41
	s_cbranch_execz .LBB6_1816
; %bb.1815:
	s_getpc_b64 s[0:1]
	s_wait_alu 0xfffe
	s_sext_i32_i16 s1, s1
	s_add_co_u32 s0, s0, .str.38@rel32@lo+12
	s_wait_alu 0xfffe
	s_add_co_ci_u32 s1, s1, .str.38@rel32@hi+24
	s_getpc_b64 s[2:3]
	s_wait_alu 0xfffe
	s_sext_i32_i16 s3, s3
	s_add_co_u32 s2, s2, .str.31@rel32@lo+12
	s_wait_alu 0xfffe
	s_add_co_ci_u32 s3, s3, .str.31@rel32@hi+24
	s_getpc_b64 s[4:5]
	s_wait_alu 0xfffe
	s_sext_i32_i16 s5, s5
	s_add_co_u32 s4, s4, __PRETTY_FUNCTION__._ZN3sop17sopDivideInternalEPNS_3SopES1_S1_S1_P7VecsMemIjLi8192EE@rel32@lo+12
	s_wait_alu 0xfffe
	s_add_co_ci_u32 s5, s5, __PRETTY_FUNCTION__._ZN3sop17sopDivideInternalEPNS_3SopES1_S1_S1_P7VecsMemIjLi8192EE@rel32@hi+24
	v_dual_mov_b32 v0, s0 :: v_dual_mov_b32 v1, s1
	v_dual_mov_b32 v2, s2 :: v_dual_mov_b32 v3, s3
	;; [unrolled: 1-line block ×3, first 2 shown]
	s_wait_alu 0xfffe
	v_mov_b32_e32 v6, s5
	s_getpc_b64 s[6:7]
	s_wait_alu 0xfffe
	s_sext_i32_i16 s7, s7
	s_add_co_u32 s6, s6, __assert_fail@rel32@lo+12
	s_wait_alu 0xfffe
	s_add_co_ci_u32 s7, s7, __assert_fail@rel32@hi+24
	s_mov_b64 s[8:9], s[52:53]
	s_wait_alu 0xfffc
	s_swappc_b64 s[30:31], s[6:7]
	s_or_b32 s23, s23, exec_lo
.LBB6_1816:
	s_wait_alu 0xfffe
	s_or_b32 exec_lo, exec_lo, s24
	s_delay_alu instid0(SALU_CYCLE_1)
	s_and_not1_b32 s0, s19, exec_lo
	s_and_b32 s1, s23, exec_lo
	s_and_b32 s24, s17, exec_lo
	s_wait_alu 0xfffe
	s_or_b32 s23, s0, s1
                                        ; implicit-def: $vgpr66_vgpr67
                                        ; implicit-def: $vgpr56
                                        ; implicit-def: $vgpr64_vgpr65
                                        ; implicit-def: $vgpr44_vgpr45
                                        ; implicit-def: $vgpr42_vgpr43
                                        ; implicit-def: $vgpr47
                                        ; implicit-def: $vgpr54_vgpr55
.LBB6_1817:
	s_wait_alu 0xfffe
	s_or_saveexec_b32 s40, s40
	s_mov_b32 s41, 0
	s_wait_alu 0xfffe
	s_xor_b32 exec_lo, exec_lo, s40
	s_cbranch_execz .LBB6_2345
; %bb.1818:
	v_mov_b32_e32 v2, -1
	s_and_saveexec_b32 s2, s28
	s_cbranch_execz .LBB6_1828
; %bb.1819:
	flat_load_b32 v2, v[66:67]
	v_dual_mov_b32 v3, -1 :: v_dual_mov_b32 v4, -1
	s_mov_b32 s3, 0
	s_mov_b32 s4, 0
	s_wait_loadcnt_dscnt 0x101
	v_cmp_lt_i32_e32 vcc_lo, 0, v56
	s_branch .LBB6_1822
.LBB6_1820:                             ;   in Loop: Header=BB6_1822 Depth=1
	s_wait_alu 0xfffe
	s_or_b32 exec_lo, exec_lo, s6
	v_cmp_lt_u32_e64 s0, 1, v5
	v_cmp_lt_i32_e64 s1, v3, v5
	s_and_b32 s0, s0, s1
	s_wait_alu 0xfffe
	v_cndmask_b32_e64 v4, v4, s4, s0
	v_cndmask_b32_e64 v3, v3, v5, s0
.LBB6_1821:                             ;   in Loop: Header=BB6_1822 Depth=1
	s_wait_alu 0xfffe
	s_or_b32 exec_lo, exec_lo, s5
	s_add_co_i32 s4, s4, 1
	s_wait_alu 0xfffe
	v_cmp_eq_u32_e64 s0, s4, v47
	s_or_b32 s3, s0, s3
	s_wait_alu 0xfffe
	s_and_not1_b32 exec_lo, exec_lo, s3
	s_cbranch_execz .LBB6_1827
.LBB6_1822:                             ; =>This Loop Header: Depth=1
                                        ;     Child Loop BB6_1825 Depth 2
	s_wait_loadcnt_dscnt 0x0
	s_wait_alu 0xfffe
	v_lshrrev_b32_e32 v0, s4, v2
	s_mov_b32 s5, exec_lo
	s_delay_alu instid0(VALU_DEP_1) | instskip(NEXT) | instid1(VALU_DEP_1)
	v_and_b32_e32 v0, 1, v0
	v_cmpx_eq_u32_e32 1, v0
	s_cbranch_execz .LBB6_1821
; %bb.1823:                             ;   in Loop: Header=BB6_1822 Depth=1
	v_mov_b32_e32 v5, 0
	s_and_saveexec_b32 s6, vcc_lo
	s_cbranch_execz .LBB6_1820
; %bb.1824:                             ;   in Loop: Header=BB6_1822 Depth=1
	v_dual_mov_b32 v5, 0 :: v_dual_mov_b32 v0, v64
	v_dual_mov_b32 v1, v65 :: v_dual_mov_b32 v6, v56
	s_mov_b32 s7, 0
.LBB6_1825:                             ;   Parent Loop BB6_1822 Depth=1
                                        ; =>  This Inner Loop Header: Depth=2
	flat_load_b32 v7, v[0:1]
	v_add_nc_u32_e32 v6, -1, v6
	v_add_co_u32 v0, s0, v0, 4
	s_wait_alu 0xf1ff
	v_add_co_ci_u32_e64 v1, null, 0, v1, s0
	s_delay_alu instid0(VALU_DEP_3) | instskip(SKIP_4) | instid1(VALU_DEP_1)
	v_cmp_eq_u32_e64 s1, 0, v6
	s_wait_alu 0xfffe
	s_or_b32 s7, s1, s7
	s_wait_loadcnt_dscnt 0x0
	v_bfe_u32 v7, v7, s4, 1
	v_add_nc_u32_e32 v5, v7, v5
	s_wait_alu 0xfffe
	s_and_not1_b32 exec_lo, exec_lo, s7
	s_cbranch_execnz .LBB6_1825
; %bb.1826:                             ;   in Loop: Header=BB6_1822 Depth=1
	s_or_b32 exec_lo, exec_lo, s7
	s_branch .LBB6_1820
.LBB6_1827:
	s_or_b32 exec_lo, exec_lo, s3
	v_cmp_lt_i32_e32 vcc_lo, -1, v3
	s_wait_alu 0xfffd
	v_cndmask_b32_e32 v2, -1, v4, vcc_lo
.LBB6_1828:
	s_wait_alu 0xfffe
	s_or_b32 exec_lo, exec_lo, s2
	flat_load_b32 v0, v[44:45]
	s_mov_b32 s0, 0
	s_mov_b32 s1, -1
	s_mov_b32 s2, s24
	s_mov_b32 s3, s23
	s_mov_b32 s49, exec_lo
                                        ; implicit-def: $vgpr41
	s_wait_loadcnt_dscnt 0x0
	v_cmpx_gt_i32_e32 0x2000, v0
	s_cbranch_execz .LBB6_2344
; %bb.1829:
	v_ashrrev_i32_e32 v1, 31, v0
	v_lshlrev_b32_e64 v82, v2, 1
	v_mov_b32_e32 v68, 0
	s_mov_b32 s67, s23
	v_mov_b32_e32 v69, 0
	v_lshlrev_b64_e32 v[3:4], 2, v[0:1]
	v_add_nc_u32_e32 v0, 1, v0
	s_delay_alu instid0(VALU_DEP_2) | instskip(SKIP_1) | instid1(VALU_DEP_3)
	v_add_co_u32 v66, vcc_lo, v44, v3
	s_wait_alu 0xfffd
	v_add_co_ci_u32_e64 v67, null, v45, v4, vcc_lo
	s_clause 0x1
	flat_store_b32 v[44:45], v0
	flat_store_b32 v[66:67], v82 offset:4
	flat_load_b32 v70, v[54:55] offset:4
	v_mov_b32_e32 v0, 0
	scratch_store_b32 off, v0, s33 offset:76
	s_wait_loadcnt_dscnt 0x0
	v_cmp_lt_i32_e64 s17, 0, v70
	s_and_saveexec_b32 s28, s17
	s_cbranch_execz .LBB6_1976
; %bb.1830:
	flat_load_b32 v0, v[44:45]
	v_mov_b32_e32 v68, 0
	s_mov_b32 s29, 0
	s_mov_b32 s0, exec_lo
	s_wait_loadcnt_dscnt 0x0
	v_dual_mov_b32 v69, 0 :: v_dual_add_nc_u32 v0, v0, v70
	s_delay_alu instid0(VALU_DEP_1)
	v_cmpx_gt_i32_e32 0x2001, v0
	s_wait_alu 0xfffe
	s_xor_b32 s0, exec_lo, s0
	s_cbranch_execz .LBB6_1832
; %bb.1831:
	v_ashrrev_i32_e32 v1, 31, v0
	v_mov_b32_e32 v71, 0
	s_mov_b32 s29, exec_lo
	flat_store_b32 v[44:45], v0
	v_lshlrev_b64_e32 v[1:2], 2, v[0:1]
	v_lshlrev_b64_e32 v[3:4], 2, v[70:71]
	s_delay_alu instid0(VALU_DEP_2) | instskip(SKIP_1) | instid1(VALU_DEP_3)
	v_add_co_u32 v1, vcc_lo, v44, v1
	s_wait_alu 0xfffd
	v_add_co_ci_u32_e64 v2, null, v45, v2, vcc_lo
	s_delay_alu instid0(VALU_DEP_2) | instskip(SKIP_1) | instid1(VALU_DEP_2)
	v_sub_co_u32 v1, vcc_lo, v1, v3
	s_wait_alu 0xfffd
	v_sub_co_ci_u32_e64 v2, null, v2, v4, vcc_lo
	s_delay_alu instid0(VALU_DEP_2) | instskip(SKIP_1) | instid1(VALU_DEP_2)
	v_add_co_u32 v68, vcc_lo, v1, 4
	s_wait_alu 0xfffd
	v_add_co_ci_u32_e64 v69, null, 0, v2, vcc_lo
.LBB6_1832:
	s_wait_alu 0xfffe
	s_or_saveexec_b32 s41, s0
	s_mov_b32 s0, s23
	s_wait_alu 0xfffe
	s_xor_b32 exec_lo, exec_lo, s41
	s_cbranch_execz .LBB6_1975
; %bb.1833:
	s_load_b64 s[2:3], s[52:53], 0x50
	v_mbcnt_lo_u32_b32 v31, -1, 0
	v_mov_b32_e32 v6, 0
	v_mov_b32_e32 v7, 0
	s_delay_alu instid0(VALU_DEP_3) | instskip(SKIP_1) | instid1(VALU_DEP_1)
	v_readfirstlane_b32 s0, v31
	s_wait_alu 0xf1ff
	v_cmp_eq_u32_e64 s0, s0, v31
	s_and_saveexec_b32 s1, s0
	s_cbranch_execz .LBB6_1839
; %bb.1834:
	v_mov_b32_e32 v0, 0
	s_mov_b32 s4, exec_lo
	s_wait_kmcnt 0x0
	global_load_b64 v[3:4], v0, s[2:3] offset:24 scope:SCOPE_SYS
	s_wait_loadcnt 0x0
	global_inv scope:SCOPE_SYS
	s_clause 0x1
	global_load_b64 v[1:2], v0, s[2:3] offset:40
	global_load_b64 v[5:6], v0, s[2:3]
	s_wait_loadcnt 0x1
	v_and_b32_e32 v2, v2, v4
	v_and_b32_e32 v1, v1, v3
	s_delay_alu instid0(VALU_DEP_2) | instskip(NEXT) | instid1(VALU_DEP_2)
	v_mul_lo_u32 v2, 24, v2
	v_mul_lo_u32 v7, 0, v1
	v_mul_hi_u32 v8, 24, v1
	v_mul_lo_u32 v1, 24, v1
	s_delay_alu instid0(VALU_DEP_3) | instskip(SKIP_1) | instid1(VALU_DEP_2)
	v_add_nc_u32_e32 v2, v2, v7
	s_wait_loadcnt 0x0
	v_add_co_u32 v1, vcc_lo, v5, v1
	s_delay_alu instid0(VALU_DEP_2) | instskip(SKIP_1) | instid1(VALU_DEP_1)
	v_add_nc_u32_e32 v2, v2, v8
	s_wait_alu 0xfffd
	v_add_co_ci_u32_e64 v2, null, v6, v2, vcc_lo
	global_load_b64 v[1:2], v[1:2], off scope:SCOPE_SYS
	s_wait_loadcnt 0x0
	global_atomic_cmpswap_b64 v[6:7], v0, v[1:4], s[2:3] offset:24 th:TH_ATOMIC_RETURN scope:SCOPE_SYS
	s_wait_loadcnt 0x0
	global_inv scope:SCOPE_SYS
	v_cmpx_ne_u64_e64 v[6:7], v[3:4]
	s_cbranch_execz .LBB6_1838
; %bb.1835:
	s_mov_b32 s5, 0
.LBB6_1836:                             ; =>This Inner Loop Header: Depth=1
	s_sleep 1
	s_clause 0x1
	global_load_b64 v[1:2], v0, s[2:3] offset:40
	global_load_b64 v[8:9], v0, s[2:3]
	v_dual_mov_b32 v3, v6 :: v_dual_mov_b32 v4, v7
	s_wait_loadcnt 0x1
	s_delay_alu instid0(VALU_DEP_1) | instskip(NEXT) | instid1(VALU_DEP_2)
	v_and_b32_e32 v1, v1, v3
	v_and_b32_e32 v2, v2, v4
	s_wait_loadcnt 0x0
	s_delay_alu instid0(VALU_DEP_2) | instskip(NEXT) | instid1(VALU_DEP_1)
	v_mad_co_u64_u32 v[5:6], null, v1, 24, v[8:9]
	v_mov_b32_e32 v1, v6
	s_delay_alu instid0(VALU_DEP_1) | instskip(NEXT) | instid1(VALU_DEP_1)
	v_mad_co_u64_u32 v[1:2], null, v2, 24, v[1:2]
	v_mov_b32_e32 v6, v1
	global_load_b64 v[1:2], v[5:6], off scope:SCOPE_SYS
	s_wait_loadcnt 0x0
	global_atomic_cmpswap_b64 v[6:7], v0, v[1:4], s[2:3] offset:24 th:TH_ATOMIC_RETURN scope:SCOPE_SYS
	s_wait_loadcnt 0x0
	global_inv scope:SCOPE_SYS
	v_cmp_eq_u64_e32 vcc_lo, v[6:7], v[3:4]
	s_wait_alu 0xfffe
	s_or_b32 s5, vcc_lo, s5
	s_wait_alu 0xfffe
	s_and_not1_b32 exec_lo, exec_lo, s5
	s_cbranch_execnz .LBB6_1836
; %bb.1837:
	s_or_b32 exec_lo, exec_lo, s5
.LBB6_1838:
	s_wait_alu 0xfffe
	s_or_b32 exec_lo, exec_lo, s4
.LBB6_1839:
	s_wait_alu 0xfffe
	s_or_b32 exec_lo, exec_lo, s1
	v_readfirstlane_b32 s4, v6
	v_mov_b32_e32 v5, 0
	v_readfirstlane_b32 s5, v7
	s_mov_b32 s1, exec_lo
	s_wait_kmcnt 0x0
	s_clause 0x1
	global_load_b64 v[8:9], v5, s[2:3] offset:40
	global_load_b128 v[0:3], v5, s[2:3]
	s_wait_loadcnt 0x1
	s_wait_alu 0xf1ff
	v_and_b32_e32 v11, s5, v9
	v_and_b32_e32 v10, s4, v8
	s_delay_alu instid0(VALU_DEP_2) | instskip(NEXT) | instid1(VALU_DEP_2)
	v_mul_lo_u32 v4, 24, v11
	v_mul_lo_u32 v6, 0, v10
	v_mul_hi_u32 v7, 24, v10
	v_mul_lo_u32 v8, 24, v10
	s_delay_alu instid0(VALU_DEP_3) | instskip(SKIP_1) | instid1(VALU_DEP_2)
	v_add_nc_u32_e32 v4, v4, v6
	s_wait_loadcnt 0x0
	v_add_co_u32 v8, vcc_lo, v0, v8
	s_delay_alu instid0(VALU_DEP_2) | instskip(SKIP_1) | instid1(VALU_DEP_1)
	v_add_nc_u32_e32 v4, v4, v7
	s_wait_alu 0xfffd
	v_add_co_ci_u32_e64 v9, null, v1, v4, vcc_lo
	s_and_saveexec_b32 s6, s0
	s_cbranch_execz .LBB6_1841
; %bb.1840:
	s_wait_alu 0xfffe
	v_dual_mov_b32 v4, s1 :: v_dual_mov_b32 v7, 1
	v_mov_b32_e32 v6, 2
	global_store_b128 v[8:9], v[4:7], off offset:8
.LBB6_1841:
	s_wait_alu 0xfffe
	s_or_b32 exec_lo, exec_lo, s6
	v_lshlrev_b64_e32 v[10:11], 12, v[10:11]
	v_dual_mov_b32 v7, v5 :: v_dual_lshlrev_b32 v30, 6, v31
	s_mov_b32 s8, 0
	s_wait_alu 0xfffe
	s_mov_b32 s11, s8
	s_delay_alu instid0(VALU_DEP_2)
	v_add_co_u32 v2, vcc_lo, v2, v10
	s_wait_alu 0xfffd
	v_add_co_ci_u32_e64 v3, null, v3, v11, vcc_lo
	s_mov_b32 s9, s8
	v_add_co_u32 v10, vcc_lo, v2, v30
	s_mov_b32 s10, s8
	s_wait_alu 0xfffe
	v_dual_mov_b32 v4, 33 :: v_dual_mov_b32 v15, s11
	v_dual_mov_b32 v6, v5 :: v_dual_mov_b32 v13, s9
	v_readfirstlane_b32 s6, v2
	v_readfirstlane_b32 s7, v3
	s_wait_alu 0xfffd
	v_add_co_ci_u32_e64 v11, null, 0, v3, vcc_lo
	v_mov_b32_e32 v14, s10
	v_mov_b32_e32 v12, s8
	s_clause 0x3
	global_store_b128 v30, v[4:7], s[6:7]
	global_store_b128 v30, v[12:15], s[6:7] offset:16
	global_store_b128 v30, v[12:15], s[6:7] offset:32
	;; [unrolled: 1-line block ×3, first 2 shown]
	s_and_saveexec_b32 s1, s0
	s_cbranch_execz .LBB6_1849
; %bb.1842:
	v_mov_b32_e32 v6, 0
	s_mov_b32 s6, exec_lo
	s_clause 0x1
	global_load_b64 v[14:15], v6, s[2:3] offset:32 scope:SCOPE_SYS
	global_load_b64 v[2:3], v6, s[2:3] offset:40
	v_dual_mov_b32 v13, s5 :: v_dual_mov_b32 v12, s4
	s_wait_loadcnt 0x0
	v_and_b32_e32 v3, s5, v3
	v_and_b32_e32 v2, s4, v2
	s_delay_alu instid0(VALU_DEP_2) | instskip(NEXT) | instid1(VALU_DEP_2)
	v_mul_lo_u32 v3, 24, v3
	v_mul_lo_u32 v4, 0, v2
	v_mul_hi_u32 v5, 24, v2
	v_mul_lo_u32 v2, 24, v2
	s_delay_alu instid0(VALU_DEP_3) | instskip(NEXT) | instid1(VALU_DEP_2)
	v_add_nc_u32_e32 v3, v3, v4
	v_add_co_u32 v4, vcc_lo, v0, v2
	s_delay_alu instid0(VALU_DEP_2) | instskip(SKIP_1) | instid1(VALU_DEP_1)
	v_add_nc_u32_e32 v3, v3, v5
	s_wait_alu 0xfffd
	v_add_co_ci_u32_e64 v5, null, v1, v3, vcc_lo
	global_store_b64 v[4:5], v[14:15], off
	global_wb scope:SCOPE_SYS
	s_wait_storecnt 0x0
	global_atomic_cmpswap_b64 v[2:3], v6, v[12:15], s[2:3] offset:32 th:TH_ATOMIC_RETURN scope:SCOPE_SYS
	s_wait_loadcnt 0x0
	v_cmpx_ne_u64_e64 v[2:3], v[14:15]
	s_cbranch_execz .LBB6_1845
; %bb.1843:
	s_mov_b32 s7, 0
.LBB6_1844:                             ; =>This Inner Loop Header: Depth=1
	v_dual_mov_b32 v0, s4 :: v_dual_mov_b32 v1, s5
	s_sleep 1
	global_store_b64 v[4:5], v[2:3], off
	global_wb scope:SCOPE_SYS
	s_wait_storecnt 0x0
	global_atomic_cmpswap_b64 v[0:1], v6, v[0:3], s[2:3] offset:32 th:TH_ATOMIC_RETURN scope:SCOPE_SYS
	s_wait_loadcnt 0x0
	v_cmp_eq_u64_e32 vcc_lo, v[0:1], v[2:3]
	v_dual_mov_b32 v3, v1 :: v_dual_mov_b32 v2, v0
	s_wait_alu 0xfffe
	s_or_b32 s7, vcc_lo, s7
	s_wait_alu 0xfffe
	s_and_not1_b32 exec_lo, exec_lo, s7
	s_cbranch_execnz .LBB6_1844
.LBB6_1845:
	s_wait_alu 0xfffe
	s_or_b32 exec_lo, exec_lo, s6
	v_mov_b32_e32 v3, 0
	s_mov_b32 s7, exec_lo
	s_mov_b32 s6, exec_lo
	s_wait_alu 0xfffe
	v_mbcnt_lo_u32_b32 v2, s7, 0
	global_load_b64 v[0:1], v3, s[2:3] offset:16
	v_cmpx_eq_u32_e32 0, v2
	s_cbranch_execz .LBB6_1847
; %bb.1846:
	s_bcnt1_i32_b32 s7, s7
	s_wait_alu 0xfffe
	v_mov_b32_e32 v2, s7
	global_wb scope:SCOPE_SYS
	s_wait_loadcnt 0x0
	s_wait_storecnt 0x0
	global_atomic_add_u64 v[0:1], v[2:3], off offset:8 scope:SCOPE_SYS
.LBB6_1847:
	s_or_b32 exec_lo, exec_lo, s6
	s_wait_loadcnt 0x0
	global_load_b64 v[2:3], v[0:1], off offset:16
	s_wait_loadcnt 0x0
	v_cmp_eq_u64_e32 vcc_lo, 0, v[2:3]
	s_cbranch_vccnz .LBB6_1849
; %bb.1848:
	global_load_b32 v0, v[0:1], off offset:24
	v_mov_b32_e32 v1, 0
	s_wait_loadcnt 0x0
	v_readfirstlane_b32 s6, v0
	global_wb scope:SCOPE_SYS
	s_wait_storecnt 0x0
	global_store_b64 v[2:3], v[0:1], off scope:SCOPE_SYS
	s_and_b32 m0, s6, 0xffffff
	s_sendmsg sendmsg(MSG_INTERRUPT)
.LBB6_1849:
	s_wait_alu 0xfffe
	s_or_b32 exec_lo, exec_lo, s1
	s_branch .LBB6_1853
.LBB6_1850:                             ;   in Loop: Header=BB6_1853 Depth=1
	s_wait_alu 0xfffe
	s_or_b32 exec_lo, exec_lo, s1
	s_delay_alu instid0(VALU_DEP_1)
	v_readfirstlane_b32 s1, v0
	s_cmp_eq_u32 s1, 0
	s_cbranch_scc1 .LBB6_1852
; %bb.1851:                             ;   in Loop: Header=BB6_1853 Depth=1
	s_sleep 1
	s_cbranch_execnz .LBB6_1853
	s_branch .LBB6_1855
.LBB6_1852:
	s_branch .LBB6_1855
.LBB6_1853:                             ; =>This Inner Loop Header: Depth=1
	v_mov_b32_e32 v0, 1
	s_and_saveexec_b32 s1, s0
	s_cbranch_execz .LBB6_1850
; %bb.1854:                             ;   in Loop: Header=BB6_1853 Depth=1
	global_load_b32 v0, v[8:9], off offset:20 scope:SCOPE_SYS
	s_wait_loadcnt 0x0
	global_inv scope:SCOPE_SYS
	v_and_b32_e32 v0, 1, v0
	s_branch .LBB6_1850
.LBB6_1855:
	global_load_b64 v[0:1], v[10:11], off
	s_and_saveexec_b32 s6, s0
	s_cbranch_execz .LBB6_1859
; %bb.1856:
	v_mov_b32_e32 v8, 0
	s_clause 0x2
	global_load_b64 v[2:3], v8, s[2:3] offset:40
	global_load_b64 v[11:12], v8, s[2:3] offset:24 scope:SCOPE_SYS
	global_load_b64 v[4:5], v8, s[2:3]
	s_wait_loadcnt 0x2
	v_readfirstlane_b32 s8, v2
	v_readfirstlane_b32 s9, v3
	s_add_nc_u64 s[0:1], s[8:9], 1
	s_wait_alu 0xfffe
	s_add_nc_u64 s[4:5], s[0:1], s[4:5]
	s_wait_alu 0xfffe
	s_cmp_eq_u64 s[4:5], 0
	s_cselect_b32 s1, s1, s5
	s_cselect_b32 s0, s0, s4
	s_wait_alu 0xfffe
	v_mov_b32_e32 v10, s1
	s_and_b64 s[4:5], s[0:1], s[8:9]
	v_mov_b32_e32 v9, s0
	s_wait_alu 0xfffe
	s_mul_u64 s[4:5], s[4:5], 24
	s_wait_loadcnt 0x0
	s_wait_alu 0xfffe
	v_add_co_u32 v6, vcc_lo, v4, s4
	s_wait_alu 0xfffd
	v_add_co_ci_u32_e64 v7, null, s5, v5, vcc_lo
	global_store_b64 v[6:7], v[11:12], off
	global_wb scope:SCOPE_SYS
	s_wait_storecnt 0x0
	global_atomic_cmpswap_b64 v[4:5], v8, v[9:12], s[2:3] offset:24 th:TH_ATOMIC_RETURN scope:SCOPE_SYS
	s_wait_loadcnt 0x0
	v_cmp_ne_u64_e32 vcc_lo, v[4:5], v[11:12]
	s_and_b32 exec_lo, exec_lo, vcc_lo
	s_cbranch_execz .LBB6_1859
; %bb.1857:
	s_mov_b32 s4, 0
.LBB6_1858:                             ; =>This Inner Loop Header: Depth=1
	v_dual_mov_b32 v2, s0 :: v_dual_mov_b32 v3, s1
	s_sleep 1
	global_store_b64 v[6:7], v[4:5], off
	global_wb scope:SCOPE_SYS
	s_wait_storecnt 0x0
	global_atomic_cmpswap_b64 v[2:3], v8, v[2:5], s[2:3] offset:24 th:TH_ATOMIC_RETURN scope:SCOPE_SYS
	s_wait_loadcnt 0x0
	v_cmp_eq_u64_e32 vcc_lo, v[2:3], v[4:5]
	v_dual_mov_b32 v5, v3 :: v_dual_mov_b32 v4, v2
	s_wait_alu 0xfffe
	s_or_b32 s4, vcc_lo, s4
	s_wait_alu 0xfffe
	s_and_not1_b32 exec_lo, exec_lo, s4
	s_cbranch_execnz .LBB6_1858
.LBB6_1859:
	s_wait_alu 0xfffe
	s_or_b32 exec_lo, exec_lo, s6
	s_getpc_b64 s[4:5]
	s_wait_alu 0xfffe
	s_sext_i32_i16 s5, s5
	s_add_co_u32 s4, s4, .str.28@rel32@lo+12
	s_wait_alu 0xfffe
	s_add_co_ci_u32 s5, s5, .str.28@rel32@hi+24
	s_wait_alu 0xfffe
	s_cmp_lg_u64 s[4:5], 0
	s_cbranch_scc0 .LBB6_1945
; %bb.1860:
	s_wait_loadcnt 0x0
	v_dual_mov_b32 v7, v1 :: v_dual_and_b32 v6, -3, v0
	v_dual_mov_b32 v3, 0 :: v_dual_mov_b32 v4, 2
	v_mov_b32_e32 v5, 1
	s_mov_b64 s[6:7], 35
	s_branch .LBB6_1862
.LBB6_1861:                             ;   in Loop: Header=BB6_1862 Depth=1
	s_wait_alu 0xfffe
	s_or_b32 exec_lo, exec_lo, s12
	s_sub_nc_u64 s[6:7], s[6:7], s[8:9]
	s_add_nc_u64 s[4:5], s[4:5], s[8:9]
	s_wait_alu 0xfffe
	s_cmp_lg_u64 s[6:7], 0
	s_cbranch_scc0 .LBB6_1944
.LBB6_1862:                             ; =>This Loop Header: Depth=1
                                        ;     Child Loop BB6_1865 Depth 2
                                        ;     Child Loop BB6_1873 Depth 2
	;; [unrolled: 1-line block ×11, first 2 shown]
	s_wait_alu 0xfffe
	v_cmp_lt_u64_e64 s0, s[6:7], 56
	v_cmp_gt_u64_e64 s1, s[6:7], 7
	s_and_b32 s0, s0, exec_lo
	s_cselect_b32 s9, s7, 0
	s_cselect_b32 s8, s6, 56
	s_and_b32 vcc_lo, exec_lo, s1
	s_wait_alu 0xfffe
	s_cbranch_vccnz .LBB6_1867
; %bb.1863:                             ;   in Loop: Header=BB6_1862 Depth=1
	s_wait_loadcnt 0x0
	v_mov_b32_e32 v8, 0
	v_mov_b32_e32 v9, 0
	s_cmp_eq_u64 s[6:7], 0
	s_cbranch_scc1 .LBB6_1866
; %bb.1864:                             ;   in Loop: Header=BB6_1862 Depth=1
	s_mov_b64 s[0:1], 0
	s_mov_b64 s[10:11], 0
.LBB6_1865:                             ;   Parent Loop BB6_1862 Depth=1
                                        ; =>  This Inner Loop Header: Depth=2
	s_wait_alu 0xfffe
	s_add_nc_u64 s[12:13], s[4:5], s[10:11]
	s_add_nc_u64 s[10:11], s[10:11], 1
	global_load_u8 v2, v3, s[12:13]
	s_wait_alu 0xfffe
	s_cmp_lg_u32 s8, s10
	s_wait_loadcnt 0x0
	v_and_b32_e32 v2, 0xffff, v2
	s_delay_alu instid0(VALU_DEP_1) | instskip(SKIP_1) | instid1(VALU_DEP_1)
	v_lshlrev_b64_e32 v[10:11], s0, v[2:3]
	s_add_nc_u64 s[0:1], s[0:1], 8
	v_or_b32_e32 v8, v10, v8
	s_delay_alu instid0(VALU_DEP_2)
	v_or_b32_e32 v9, v11, v9
	s_cbranch_scc1 .LBB6_1865
.LBB6_1866:                             ;   in Loop: Header=BB6_1862 Depth=1
	s_mov_b32 s0, 0
	s_mov_b64 s[10:11], s[4:5]
	s_branch .LBB6_1868
.LBB6_1867:                             ;   in Loop: Header=BB6_1862 Depth=1
	s_add_nc_u64 s[10:11], s[4:5], 8
	s_mov_b32 s0, -1
.LBB6_1868:                             ;   in Loop: Header=BB6_1862 Depth=1
	s_wait_alu 0xfffe
	s_and_not1_b32 vcc_lo, exec_lo, s0
	s_mov_b32 s14, 0
	s_wait_alu 0xfffe
	s_cbranch_vccnz .LBB6_1870
; %bb.1869:                             ;   in Loop: Header=BB6_1862 Depth=1
	s_wait_loadcnt 0x0
	global_load_b64 v[8:9], v3, s[4:5]
	s_add_co_i32 s14, s8, -8
.LBB6_1870:                             ;   in Loop: Header=BB6_1862 Depth=1
	s_wait_alu 0xfffe
	s_cmp_gt_u32 s14, 7
	s_cbranch_scc1 .LBB6_1875
; %bb.1871:                             ;   in Loop: Header=BB6_1862 Depth=1
	v_mov_b32_e32 v10, 0
	v_mov_b32_e32 v11, 0
	s_cmp_eq_u32 s14, 0
	s_cbranch_scc1 .LBB6_1874
; %bb.1872:                             ;   in Loop: Header=BB6_1862 Depth=1
	s_mov_b64 s[0:1], 0
	s_mov_b64 s[12:13], 0
.LBB6_1873:                             ;   Parent Loop BB6_1862 Depth=1
                                        ; =>  This Inner Loop Header: Depth=2
	s_wait_alu 0xfffe
	s_add_nc_u64 s[42:43], s[10:11], s[12:13]
	s_add_nc_u64 s[12:13], s[12:13], 1
	global_load_u8 v2, v3, s[42:43]
	s_wait_alu 0xfffe
	s_cmp_lg_u32 s14, s12
	s_wait_loadcnt 0x0
	v_and_b32_e32 v2, 0xffff, v2
	s_delay_alu instid0(VALU_DEP_1) | instskip(SKIP_1) | instid1(VALU_DEP_1)
	v_lshlrev_b64_e32 v[12:13], s0, v[2:3]
	s_add_nc_u64 s[0:1], s[0:1], 8
	v_or_b32_e32 v10, v12, v10
	s_delay_alu instid0(VALU_DEP_2)
	v_or_b32_e32 v11, v13, v11
	s_cbranch_scc1 .LBB6_1873
.LBB6_1874:                             ;   in Loop: Header=BB6_1862 Depth=1
	s_mov_b32 s12, 0
	s_mov_b64 s[0:1], s[10:11]
	s_branch .LBB6_1876
.LBB6_1875:                             ;   in Loop: Header=BB6_1862 Depth=1
	s_add_nc_u64 s[0:1], s[10:11], 8
	s_mov_b32 s12, -1
                                        ; implicit-def: $vgpr10_vgpr11
.LBB6_1876:                             ;   in Loop: Header=BB6_1862 Depth=1
	s_wait_alu 0xfffe
	s_and_not1_b32 vcc_lo, exec_lo, s12
	s_mov_b32 s15, 0
	s_wait_alu 0xfffe
	s_cbranch_vccnz .LBB6_1878
; %bb.1877:                             ;   in Loop: Header=BB6_1862 Depth=1
	global_load_b64 v[10:11], v3, s[10:11]
	s_add_co_i32 s15, s14, -8
.LBB6_1878:                             ;   in Loop: Header=BB6_1862 Depth=1
	s_wait_alu 0xfffe
	s_cmp_gt_u32 s15, 7
	s_cbranch_scc1 .LBB6_1883
; %bb.1879:                             ;   in Loop: Header=BB6_1862 Depth=1
	v_mov_b32_e32 v12, 0
	v_mov_b32_e32 v13, 0
	s_cmp_eq_u32 s15, 0
	s_cbranch_scc1 .LBB6_1882
; %bb.1880:                             ;   in Loop: Header=BB6_1862 Depth=1
	s_mov_b64 s[10:11], 0
	s_mov_b64 s[12:13], 0
.LBB6_1881:                             ;   Parent Loop BB6_1862 Depth=1
                                        ; =>  This Inner Loop Header: Depth=2
	s_wait_alu 0xfffe
	s_add_nc_u64 s[42:43], s[0:1], s[12:13]
	s_add_nc_u64 s[12:13], s[12:13], 1
	global_load_u8 v2, v3, s[42:43]
	s_wait_alu 0xfffe
	s_cmp_lg_u32 s15, s12
	s_wait_loadcnt 0x0
	v_and_b32_e32 v2, 0xffff, v2
	s_delay_alu instid0(VALU_DEP_1) | instskip(SKIP_1) | instid1(VALU_DEP_1)
	v_lshlrev_b64_e32 v[14:15], s10, v[2:3]
	s_add_nc_u64 s[10:11], s[10:11], 8
	v_or_b32_e32 v12, v14, v12
	s_delay_alu instid0(VALU_DEP_2)
	v_or_b32_e32 v13, v15, v13
	s_cbranch_scc1 .LBB6_1881
.LBB6_1882:                             ;   in Loop: Header=BB6_1862 Depth=1
	s_mov_b32 s12, 0
	s_mov_b64 s[10:11], s[0:1]
	s_branch .LBB6_1884
.LBB6_1883:                             ;   in Loop: Header=BB6_1862 Depth=1
	s_add_nc_u64 s[10:11], s[0:1], 8
	s_mov_b32 s12, -1
.LBB6_1884:                             ;   in Loop: Header=BB6_1862 Depth=1
	s_wait_alu 0xfffe
	s_and_not1_b32 vcc_lo, exec_lo, s12
	s_mov_b32 s14, 0
	s_wait_alu 0xfffe
	s_cbranch_vccnz .LBB6_1886
; %bb.1885:                             ;   in Loop: Header=BB6_1862 Depth=1
	global_load_b64 v[12:13], v3, s[0:1]
	s_add_co_i32 s14, s15, -8
.LBB6_1886:                             ;   in Loop: Header=BB6_1862 Depth=1
	s_wait_alu 0xfffe
	s_cmp_gt_u32 s14, 7
	s_cbranch_scc1 .LBB6_1891
; %bb.1887:                             ;   in Loop: Header=BB6_1862 Depth=1
	v_mov_b32_e32 v14, 0
	v_mov_b32_e32 v15, 0
	s_cmp_eq_u32 s14, 0
	s_cbranch_scc1 .LBB6_1890
; %bb.1888:                             ;   in Loop: Header=BB6_1862 Depth=1
	s_mov_b64 s[0:1], 0
	s_mov_b64 s[12:13], 0
.LBB6_1889:                             ;   Parent Loop BB6_1862 Depth=1
                                        ; =>  This Inner Loop Header: Depth=2
	s_wait_alu 0xfffe
	s_add_nc_u64 s[42:43], s[10:11], s[12:13]
	s_add_nc_u64 s[12:13], s[12:13], 1
	global_load_u8 v2, v3, s[42:43]
	s_wait_alu 0xfffe
	s_cmp_lg_u32 s14, s12
	s_wait_loadcnt 0x0
	v_and_b32_e32 v2, 0xffff, v2
	s_delay_alu instid0(VALU_DEP_1) | instskip(SKIP_1) | instid1(VALU_DEP_1)
	v_lshlrev_b64_e32 v[16:17], s0, v[2:3]
	s_add_nc_u64 s[0:1], s[0:1], 8
	v_or_b32_e32 v14, v16, v14
	s_delay_alu instid0(VALU_DEP_2)
	v_or_b32_e32 v15, v17, v15
	s_cbranch_scc1 .LBB6_1889
.LBB6_1890:                             ;   in Loop: Header=BB6_1862 Depth=1
	s_mov_b32 s12, 0
	s_mov_b64 s[0:1], s[10:11]
	s_branch .LBB6_1892
.LBB6_1891:                             ;   in Loop: Header=BB6_1862 Depth=1
	s_add_nc_u64 s[0:1], s[10:11], 8
	s_mov_b32 s12, -1
                                        ; implicit-def: $vgpr14_vgpr15
.LBB6_1892:                             ;   in Loop: Header=BB6_1862 Depth=1
	s_wait_alu 0xfffe
	s_and_not1_b32 vcc_lo, exec_lo, s12
	s_mov_b32 s15, 0
	s_wait_alu 0xfffe
	s_cbranch_vccnz .LBB6_1894
; %bb.1893:                             ;   in Loop: Header=BB6_1862 Depth=1
	global_load_b64 v[14:15], v3, s[10:11]
	s_add_co_i32 s15, s14, -8
.LBB6_1894:                             ;   in Loop: Header=BB6_1862 Depth=1
	s_wait_alu 0xfffe
	s_cmp_gt_u32 s15, 7
	s_cbranch_scc1 .LBB6_1899
; %bb.1895:                             ;   in Loop: Header=BB6_1862 Depth=1
	v_mov_b32_e32 v16, 0
	v_mov_b32_e32 v17, 0
	s_cmp_eq_u32 s15, 0
	s_cbranch_scc1 .LBB6_1898
; %bb.1896:                             ;   in Loop: Header=BB6_1862 Depth=1
	s_mov_b64 s[10:11], 0
	s_mov_b64 s[12:13], 0
.LBB6_1897:                             ;   Parent Loop BB6_1862 Depth=1
                                        ; =>  This Inner Loop Header: Depth=2
	s_wait_alu 0xfffe
	s_add_nc_u64 s[42:43], s[0:1], s[12:13]
	s_add_nc_u64 s[12:13], s[12:13], 1
	global_load_u8 v2, v3, s[42:43]
	s_wait_alu 0xfffe
	s_cmp_lg_u32 s15, s12
	s_wait_loadcnt 0x0
	v_and_b32_e32 v2, 0xffff, v2
	s_delay_alu instid0(VALU_DEP_1) | instskip(SKIP_1) | instid1(VALU_DEP_1)
	v_lshlrev_b64_e32 v[18:19], s10, v[2:3]
	s_add_nc_u64 s[10:11], s[10:11], 8
	v_or_b32_e32 v16, v18, v16
	s_delay_alu instid0(VALU_DEP_2)
	v_or_b32_e32 v17, v19, v17
	s_cbranch_scc1 .LBB6_1897
.LBB6_1898:                             ;   in Loop: Header=BB6_1862 Depth=1
	s_mov_b32 s12, 0
	s_mov_b64 s[10:11], s[0:1]
	s_branch .LBB6_1900
.LBB6_1899:                             ;   in Loop: Header=BB6_1862 Depth=1
	s_add_nc_u64 s[10:11], s[0:1], 8
	s_mov_b32 s12, -1
.LBB6_1900:                             ;   in Loop: Header=BB6_1862 Depth=1
	s_wait_alu 0xfffe
	s_and_not1_b32 vcc_lo, exec_lo, s12
	s_mov_b32 s14, 0
	s_wait_alu 0xfffe
	s_cbranch_vccnz .LBB6_1902
; %bb.1901:                             ;   in Loop: Header=BB6_1862 Depth=1
	global_load_b64 v[16:17], v3, s[0:1]
	s_add_co_i32 s14, s15, -8
.LBB6_1902:                             ;   in Loop: Header=BB6_1862 Depth=1
	s_wait_alu 0xfffe
	s_cmp_gt_u32 s14, 7
	s_cbranch_scc1 .LBB6_1907
; %bb.1903:                             ;   in Loop: Header=BB6_1862 Depth=1
	v_mov_b32_e32 v18, 0
	v_mov_b32_e32 v19, 0
	s_cmp_eq_u32 s14, 0
	s_cbranch_scc1 .LBB6_1906
; %bb.1904:                             ;   in Loop: Header=BB6_1862 Depth=1
	s_mov_b64 s[0:1], 0
	s_mov_b64 s[12:13], 0
.LBB6_1905:                             ;   Parent Loop BB6_1862 Depth=1
                                        ; =>  This Inner Loop Header: Depth=2
	s_wait_alu 0xfffe
	s_add_nc_u64 s[42:43], s[10:11], s[12:13]
	s_add_nc_u64 s[12:13], s[12:13], 1
	global_load_u8 v2, v3, s[42:43]
	s_wait_alu 0xfffe
	s_cmp_lg_u32 s14, s12
	s_wait_loadcnt 0x0
	v_and_b32_e32 v2, 0xffff, v2
	s_delay_alu instid0(VALU_DEP_1) | instskip(SKIP_1) | instid1(VALU_DEP_1)
	v_lshlrev_b64_e32 v[20:21], s0, v[2:3]
	s_add_nc_u64 s[0:1], s[0:1], 8
	v_or_b32_e32 v18, v20, v18
	s_delay_alu instid0(VALU_DEP_2)
	v_or_b32_e32 v19, v21, v19
	s_cbranch_scc1 .LBB6_1905
.LBB6_1906:                             ;   in Loop: Header=BB6_1862 Depth=1
	s_mov_b32 s12, 0
	s_mov_b64 s[0:1], s[10:11]
	s_branch .LBB6_1908
.LBB6_1907:                             ;   in Loop: Header=BB6_1862 Depth=1
	s_add_nc_u64 s[0:1], s[10:11], 8
	s_mov_b32 s12, -1
                                        ; implicit-def: $vgpr18_vgpr19
.LBB6_1908:                             ;   in Loop: Header=BB6_1862 Depth=1
	s_wait_alu 0xfffe
	s_and_not1_b32 vcc_lo, exec_lo, s12
	s_mov_b32 s15, 0
	s_wait_alu 0xfffe
	s_cbranch_vccnz .LBB6_1910
; %bb.1909:                             ;   in Loop: Header=BB6_1862 Depth=1
	global_load_b64 v[18:19], v3, s[10:11]
	s_add_co_i32 s15, s14, -8
.LBB6_1910:                             ;   in Loop: Header=BB6_1862 Depth=1
	s_wait_alu 0xfffe
	s_cmp_gt_u32 s15, 7
	s_cbranch_scc1 .LBB6_1915
; %bb.1911:                             ;   in Loop: Header=BB6_1862 Depth=1
	v_mov_b32_e32 v20, 0
	v_mov_b32_e32 v21, 0
	s_cmp_eq_u32 s15, 0
	s_cbranch_scc1 .LBB6_1914
; %bb.1912:                             ;   in Loop: Header=BB6_1862 Depth=1
	s_mov_b64 s[10:11], 0
	s_mov_b64 s[12:13], s[0:1]
.LBB6_1913:                             ;   Parent Loop BB6_1862 Depth=1
                                        ; =>  This Inner Loop Header: Depth=2
	global_load_u8 v2, v3, s[12:13]
	s_add_co_i32 s15, s15, -1
	s_wait_alu 0xfffe
	s_add_nc_u64 s[12:13], s[12:13], 1
	s_cmp_lg_u32 s15, 0
	s_wait_loadcnt 0x0
	v_and_b32_e32 v2, 0xffff, v2
	s_delay_alu instid0(VALU_DEP_1) | instskip(SKIP_1) | instid1(VALU_DEP_1)
	v_lshlrev_b64_e32 v[22:23], s10, v[2:3]
	s_add_nc_u64 s[10:11], s[10:11], 8
	v_or_b32_e32 v20, v22, v20
	s_delay_alu instid0(VALU_DEP_2)
	v_or_b32_e32 v21, v23, v21
	s_cbranch_scc1 .LBB6_1913
.LBB6_1914:                             ;   in Loop: Header=BB6_1862 Depth=1
	s_mov_b32 s10, 0
	s_branch .LBB6_1916
.LBB6_1915:                             ;   in Loop: Header=BB6_1862 Depth=1
	s_mov_b32 s10, -1
.LBB6_1916:                             ;   in Loop: Header=BB6_1862 Depth=1
	s_wait_alu 0xfffe
	s_and_not1_b32 vcc_lo, exec_lo, s10
	s_wait_alu 0xfffe
	s_cbranch_vccnz .LBB6_1918
; %bb.1917:                             ;   in Loop: Header=BB6_1862 Depth=1
	global_load_b64 v[20:21], v3, s[0:1]
.LBB6_1918:                             ;   in Loop: Header=BB6_1862 Depth=1
	v_readfirstlane_b32 s0, v31
	v_mov_b32_e32 v26, 0
	v_mov_b32_e32 v27, 0
	s_wait_alu 0xf1ff
	s_delay_alu instid0(VALU_DEP_3)
	v_cmp_eq_u32_e64 s0, s0, v31
	s_and_saveexec_b32 s1, s0
	s_cbranch_execz .LBB6_1924
; %bb.1919:                             ;   in Loop: Header=BB6_1862 Depth=1
	global_load_b64 v[24:25], v3, s[2:3] offset:24 scope:SCOPE_SYS
	s_wait_loadcnt 0x0
	global_inv scope:SCOPE_SYS
	s_clause 0x1
	global_load_b64 v[22:23], v3, s[2:3] offset:40
	global_load_b64 v[26:27], v3, s[2:3]
	s_mov_b32 s10, exec_lo
	s_wait_loadcnt 0x1
	v_and_b32_e32 v2, v23, v25
	v_and_b32_e32 v22, v22, v24
	s_delay_alu instid0(VALU_DEP_2) | instskip(NEXT) | instid1(VALU_DEP_2)
	v_mul_lo_u32 v2, 24, v2
	v_mul_lo_u32 v23, 0, v22
	v_mul_hi_u32 v28, 24, v22
	v_mul_lo_u32 v22, 24, v22
	s_delay_alu instid0(VALU_DEP_3) | instskip(SKIP_1) | instid1(VALU_DEP_2)
	v_add_nc_u32_e32 v2, v2, v23
	s_wait_loadcnt 0x0
	v_add_co_u32 v22, vcc_lo, v26, v22
	s_delay_alu instid0(VALU_DEP_2) | instskip(SKIP_1) | instid1(VALU_DEP_1)
	v_add_nc_u32_e32 v2, v2, v28
	s_wait_alu 0xfffd
	v_add_co_ci_u32_e64 v23, null, v27, v2, vcc_lo
	global_load_b64 v[22:23], v[22:23], off scope:SCOPE_SYS
	s_wait_loadcnt 0x0
	global_atomic_cmpswap_b64 v[26:27], v3, v[22:25], s[2:3] offset:24 th:TH_ATOMIC_RETURN scope:SCOPE_SYS
	s_wait_loadcnt 0x0
	global_inv scope:SCOPE_SYS
	v_cmpx_ne_u64_e64 v[26:27], v[24:25]
	s_cbranch_execz .LBB6_1923
; %bb.1920:                             ;   in Loop: Header=BB6_1862 Depth=1
	s_mov_b32 s11, 0
.LBB6_1921:                             ;   Parent Loop BB6_1862 Depth=1
                                        ; =>  This Inner Loop Header: Depth=2
	s_sleep 1
	s_clause 0x1
	global_load_b64 v[22:23], v3, s[2:3] offset:40
	global_load_b64 v[28:29], v3, s[2:3]
	v_dual_mov_b32 v24, v26 :: v_dual_mov_b32 v25, v27
	s_wait_loadcnt 0x1
	s_delay_alu instid0(VALU_DEP_1) | instskip(NEXT) | instid1(VALU_DEP_2)
	v_and_b32_e32 v2, v22, v24
	v_and_b32_e32 v22, v23, v25
	s_wait_loadcnt 0x0
	s_delay_alu instid0(VALU_DEP_2) | instskip(NEXT) | instid1(VALU_DEP_1)
	v_mad_co_u64_u32 v[26:27], null, v2, 24, v[28:29]
	v_mov_b32_e32 v2, v27
	s_delay_alu instid0(VALU_DEP_1) | instskip(NEXT) | instid1(VALU_DEP_1)
	v_mad_co_u64_u32 v[22:23], null, v22, 24, v[2:3]
	v_mov_b32_e32 v27, v22
	global_load_b64 v[22:23], v[26:27], off scope:SCOPE_SYS
	s_wait_loadcnt 0x0
	global_atomic_cmpswap_b64 v[26:27], v3, v[22:25], s[2:3] offset:24 th:TH_ATOMIC_RETURN scope:SCOPE_SYS
	s_wait_loadcnt 0x0
	global_inv scope:SCOPE_SYS
	v_cmp_eq_u64_e32 vcc_lo, v[26:27], v[24:25]
	s_wait_alu 0xfffe
	s_or_b32 s11, vcc_lo, s11
	s_wait_alu 0xfffe
	s_and_not1_b32 exec_lo, exec_lo, s11
	s_cbranch_execnz .LBB6_1921
; %bb.1922:                             ;   in Loop: Header=BB6_1862 Depth=1
	s_or_b32 exec_lo, exec_lo, s11
.LBB6_1923:                             ;   in Loop: Header=BB6_1862 Depth=1
	s_wait_alu 0xfffe
	s_or_b32 exec_lo, exec_lo, s10
.LBB6_1924:                             ;   in Loop: Header=BB6_1862 Depth=1
	s_wait_alu 0xfffe
	s_or_b32 exec_lo, exec_lo, s1
	s_clause 0x1
	global_load_b64 v[28:29], v3, s[2:3] offset:40
	global_load_b128 v[22:25], v3, s[2:3]
	v_readfirstlane_b32 s11, v27
	v_readfirstlane_b32 s10, v26
	s_mov_b32 s1, exec_lo
	s_wait_loadcnt 0x1
	s_wait_alu 0xf1ff
	v_and_b32_e32 v29, s11, v29
	v_and_b32_e32 v28, s10, v28
	s_delay_alu instid0(VALU_DEP_2) | instskip(NEXT) | instid1(VALU_DEP_2)
	v_mul_lo_u32 v2, 24, v29
	v_mul_lo_u32 v26, 0, v28
	v_mul_hi_u32 v27, 24, v28
	v_mul_lo_u32 v32, 24, v28
	s_delay_alu instid0(VALU_DEP_3) | instskip(SKIP_1) | instid1(VALU_DEP_2)
	v_add_nc_u32_e32 v2, v2, v26
	s_wait_loadcnt 0x0
	v_add_co_u32 v26, vcc_lo, v22, v32
	s_delay_alu instid0(VALU_DEP_2) | instskip(SKIP_1) | instid1(VALU_DEP_1)
	v_add_nc_u32_e32 v2, v2, v27
	s_wait_alu 0xfffd
	v_add_co_ci_u32_e64 v27, null, v23, v2, vcc_lo
	s_and_saveexec_b32 s12, s0
	s_cbranch_execz .LBB6_1926
; %bb.1925:                             ;   in Loop: Header=BB6_1862 Depth=1
	s_wait_alu 0xfffe
	v_mov_b32_e32 v2, s1
	global_store_b128 v[26:27], v[2:5], off offset:8
.LBB6_1926:                             ;   in Loop: Header=BB6_1862 Depth=1
	s_wait_alu 0xfffe
	s_or_b32 exec_lo, exec_lo, s12
	v_cmp_gt_u64_e64 s1, s[6:7], 56
	v_lshlrev_b64_e32 v[28:29], 12, v[28:29]
	v_and_b32_e32 v2, 0xffffff1f, v6
	s_and_b32 s1, s1, exec_lo
	s_delay_alu instid0(VALU_DEP_2)
	v_add_co_u32 v24, vcc_lo, v24, v28
	s_cselect_b32 s1, 0, 2
	s_wait_alu 0xfffd
	v_add_co_ci_u32_e64 v25, null, v25, v29, vcc_lo
	s_wait_alu 0xfffe
	v_or_b32_e32 v2, s1, v2
	s_lshl_b32 s12, s8, 2
	s_wait_alu 0xfffe
	s_add_co_i32 s1, s12, 28
	v_readfirstlane_b32 s12, v24
	v_readfirstlane_b32 s13, v25
	s_wait_alu 0xfffe
	v_and_or_b32 v6, 0x1e0, s1, v2
	s_clause 0x3
	global_store_b128 v30, v[6:9], s[12:13]
	global_store_b128 v30, v[10:13], s[12:13] offset:16
	global_store_b128 v30, v[14:17], s[12:13] offset:32
	;; [unrolled: 1-line block ×3, first 2 shown]
	s_and_saveexec_b32 s1, s0
	s_cbranch_execz .LBB6_1934
; %bb.1927:                             ;   in Loop: Header=BB6_1862 Depth=1
	s_clause 0x1
	global_load_b64 v[14:15], v3, s[2:3] offset:32 scope:SCOPE_SYS
	global_load_b64 v[6:7], v3, s[2:3] offset:40
	v_mov_b32_e32 v12, s10
	s_mov_b32 s12, exec_lo
	s_wait_loadcnt 0x0
	v_dual_mov_b32 v13, s11 :: v_dual_and_b32 v2, s11, v7
	v_and_b32_e32 v6, s10, v6
	s_delay_alu instid0(VALU_DEP_2) | instskip(NEXT) | instid1(VALU_DEP_2)
	v_mul_lo_u32 v2, 24, v2
	v_mul_lo_u32 v7, 0, v6
	v_mul_hi_u32 v8, 24, v6
	v_mul_lo_u32 v6, 24, v6
	s_delay_alu instid0(VALU_DEP_3) | instskip(NEXT) | instid1(VALU_DEP_2)
	v_add_nc_u32_e32 v2, v2, v7
	v_add_co_u32 v10, vcc_lo, v22, v6
	s_delay_alu instid0(VALU_DEP_2) | instskip(SKIP_1) | instid1(VALU_DEP_1)
	v_add_nc_u32_e32 v2, v2, v8
	s_wait_alu 0xfffd
	v_add_co_ci_u32_e64 v11, null, v23, v2, vcc_lo
	global_store_b64 v[10:11], v[14:15], off
	global_wb scope:SCOPE_SYS
	s_wait_storecnt 0x0
	global_atomic_cmpswap_b64 v[8:9], v3, v[12:15], s[2:3] offset:32 th:TH_ATOMIC_RETURN scope:SCOPE_SYS
	s_wait_loadcnt 0x0
	v_cmpx_ne_u64_e64 v[8:9], v[14:15]
	s_cbranch_execz .LBB6_1930
; %bb.1928:                             ;   in Loop: Header=BB6_1862 Depth=1
	s_mov_b32 s13, 0
.LBB6_1929:                             ;   Parent Loop BB6_1862 Depth=1
                                        ; =>  This Inner Loop Header: Depth=2
	v_dual_mov_b32 v6, s10 :: v_dual_mov_b32 v7, s11
	s_sleep 1
	global_store_b64 v[10:11], v[8:9], off
	global_wb scope:SCOPE_SYS
	s_wait_storecnt 0x0
	global_atomic_cmpswap_b64 v[6:7], v3, v[6:9], s[2:3] offset:32 th:TH_ATOMIC_RETURN scope:SCOPE_SYS
	s_wait_loadcnt 0x0
	v_cmp_eq_u64_e32 vcc_lo, v[6:7], v[8:9]
	v_dual_mov_b32 v9, v7 :: v_dual_mov_b32 v8, v6
	s_wait_alu 0xfffe
	s_or_b32 s13, vcc_lo, s13
	s_wait_alu 0xfffe
	s_and_not1_b32 exec_lo, exec_lo, s13
	s_cbranch_execnz .LBB6_1929
.LBB6_1930:                             ;   in Loop: Header=BB6_1862 Depth=1
	s_wait_alu 0xfffe
	s_or_b32 exec_lo, exec_lo, s12
	global_load_b64 v[6:7], v3, s[2:3] offset:16
	s_mov_b32 s13, exec_lo
	s_mov_b32 s12, exec_lo
	s_wait_alu 0xfffe
	v_mbcnt_lo_u32_b32 v2, s13, 0
	s_delay_alu instid0(VALU_DEP_1)
	v_cmpx_eq_u32_e32 0, v2
	s_cbranch_execz .LBB6_1932
; %bb.1931:                             ;   in Loop: Header=BB6_1862 Depth=1
	s_bcnt1_i32_b32 s13, s13
	s_wait_alu 0xfffe
	v_mov_b32_e32 v2, s13
	global_wb scope:SCOPE_SYS
	s_wait_loadcnt 0x0
	s_wait_storecnt 0x0
	global_atomic_add_u64 v[6:7], v[2:3], off offset:8 scope:SCOPE_SYS
.LBB6_1932:                             ;   in Loop: Header=BB6_1862 Depth=1
	s_or_b32 exec_lo, exec_lo, s12
	s_wait_loadcnt 0x0
	global_load_b64 v[8:9], v[6:7], off offset:16
	s_wait_loadcnt 0x0
	v_cmp_eq_u64_e32 vcc_lo, 0, v[8:9]
	s_cbranch_vccnz .LBB6_1934
; %bb.1933:                             ;   in Loop: Header=BB6_1862 Depth=1
	global_load_b32 v2, v[6:7], off offset:24
	s_wait_loadcnt 0x0
	v_readfirstlane_b32 s12, v2
	global_wb scope:SCOPE_SYS
	s_wait_storecnt 0x0
	global_store_b64 v[8:9], v[2:3], off scope:SCOPE_SYS
	s_and_b32 m0, s12, 0xffffff
	s_sendmsg sendmsg(MSG_INTERRUPT)
.LBB6_1934:                             ;   in Loop: Header=BB6_1862 Depth=1
	s_wait_alu 0xfffe
	s_or_b32 exec_lo, exec_lo, s1
	v_add_co_u32 v6, vcc_lo, v24, v30
	s_wait_alu 0xfffd
	v_add_co_ci_u32_e64 v7, null, 0, v25, vcc_lo
	s_branch .LBB6_1938
.LBB6_1935:                             ;   in Loop: Header=BB6_1938 Depth=2
	s_wait_alu 0xfffe
	s_or_b32 exec_lo, exec_lo, s1
	s_delay_alu instid0(VALU_DEP_1)
	v_readfirstlane_b32 s1, v2
	s_cmp_eq_u32 s1, 0
	s_cbranch_scc1 .LBB6_1937
; %bb.1936:                             ;   in Loop: Header=BB6_1938 Depth=2
	s_sleep 1
	s_cbranch_execnz .LBB6_1938
	s_branch .LBB6_1940
.LBB6_1937:                             ;   in Loop: Header=BB6_1862 Depth=1
	s_branch .LBB6_1940
.LBB6_1938:                             ;   Parent Loop BB6_1862 Depth=1
                                        ; =>  This Inner Loop Header: Depth=2
	v_mov_b32_e32 v2, 1
	s_and_saveexec_b32 s1, s0
	s_cbranch_execz .LBB6_1935
; %bb.1939:                             ;   in Loop: Header=BB6_1938 Depth=2
	global_load_b32 v2, v[26:27], off offset:20 scope:SCOPE_SYS
	s_wait_loadcnt 0x0
	global_inv scope:SCOPE_SYS
	v_and_b32_e32 v2, 1, v2
	s_branch .LBB6_1935
.LBB6_1940:                             ;   in Loop: Header=BB6_1862 Depth=1
	global_load_b128 v[6:9], v[6:7], off
	s_and_saveexec_b32 s12, s0
	s_cbranch_execz .LBB6_1861
; %bb.1941:                             ;   in Loop: Header=BB6_1862 Depth=1
	s_wait_loadcnt 0x0
	s_clause 0x2
	global_load_b64 v[8:9], v3, s[2:3] offset:40
	global_load_b64 v[16:17], v3, s[2:3] offset:24 scope:SCOPE_SYS
	global_load_b64 v[10:11], v3, s[2:3]
	s_wait_loadcnt 0x2
	v_readfirstlane_b32 s14, v8
	v_readfirstlane_b32 s15, v9
	s_add_nc_u64 s[0:1], s[14:15], 1
	s_wait_alu 0xfffe
	s_add_nc_u64 s[10:11], s[0:1], s[10:11]
	s_wait_alu 0xfffe
	s_cmp_eq_u64 s[10:11], 0
	s_cselect_b32 s1, s1, s11
	s_cselect_b32 s0, s0, s10
	s_wait_alu 0xfffe
	v_dual_mov_b32 v15, s1 :: v_dual_mov_b32 v14, s0
	s_and_b64 s[10:11], s[0:1], s[14:15]
	s_wait_alu 0xfffe
	s_mul_u64 s[10:11], s[10:11], 24
	s_wait_loadcnt 0x0
	s_wait_alu 0xfffe
	v_add_co_u32 v12, vcc_lo, v10, s10
	s_wait_alu 0xfffd
	v_add_co_ci_u32_e64 v13, null, s11, v11, vcc_lo
	global_store_b64 v[12:13], v[16:17], off
	global_wb scope:SCOPE_SYS
	s_wait_storecnt 0x0
	global_atomic_cmpswap_b64 v[10:11], v3, v[14:17], s[2:3] offset:24 th:TH_ATOMIC_RETURN scope:SCOPE_SYS
	s_wait_loadcnt 0x0
	v_cmp_ne_u64_e32 vcc_lo, v[10:11], v[16:17]
	s_and_b32 exec_lo, exec_lo, vcc_lo
	s_cbranch_execz .LBB6_1861
; %bb.1942:                             ;   in Loop: Header=BB6_1862 Depth=1
	s_mov_b32 s10, 0
.LBB6_1943:                             ;   Parent Loop BB6_1862 Depth=1
                                        ; =>  This Inner Loop Header: Depth=2
	v_dual_mov_b32 v8, s0 :: v_dual_mov_b32 v9, s1
	s_sleep 1
	global_store_b64 v[12:13], v[10:11], off
	global_wb scope:SCOPE_SYS
	s_wait_storecnt 0x0
	global_atomic_cmpswap_b64 v[8:9], v3, v[8:11], s[2:3] offset:24 th:TH_ATOMIC_RETURN scope:SCOPE_SYS
	s_wait_loadcnt 0x0
	v_cmp_eq_u64_e32 vcc_lo, v[8:9], v[10:11]
	v_dual_mov_b32 v11, v9 :: v_dual_mov_b32 v10, v8
	s_wait_alu 0xfffe
	s_or_b32 s10, vcc_lo, s10
	s_wait_alu 0xfffe
	s_and_not1_b32 exec_lo, exec_lo, s10
	s_cbranch_execnz .LBB6_1943
	s_branch .LBB6_1861
.LBB6_1944:
	s_mov_b32 s0, 0
	s_branch .LBB6_1946
.LBB6_1945:
	s_mov_b32 s0, -1
.LBB6_1946:
	s_wait_alu 0xfffe
	s_and_b32 vcc_lo, exec_lo, s0
	s_wait_alu 0xfffe
	s_cbranch_vccz .LBB6_1974
; %bb.1947:
	v_readfirstlane_b32 s0, v31
	s_wait_loadcnt 0x0
	v_mov_b32_e32 v8, 0
	v_mov_b32_e32 v9, 0
	s_wait_alu 0xf1ff
	v_cmp_eq_u32_e64 s0, s0, v31
	s_and_saveexec_b32 s1, s0
	s_cbranch_execz .LBB6_1953
; %bb.1948:
	v_mov_b32_e32 v2, 0
	s_mov_b32 s4, exec_lo
	global_load_b64 v[5:6], v2, s[2:3] offset:24 scope:SCOPE_SYS
	s_wait_loadcnt 0x0
	global_inv scope:SCOPE_SYS
	s_clause 0x1
	global_load_b64 v[3:4], v2, s[2:3] offset:40
	global_load_b64 v[7:8], v2, s[2:3]
	s_wait_loadcnt 0x1
	v_and_b32_e32 v4, v4, v6
	v_and_b32_e32 v3, v3, v5
	s_delay_alu instid0(VALU_DEP_2) | instskip(NEXT) | instid1(VALU_DEP_2)
	v_mul_lo_u32 v4, 24, v4
	v_mul_lo_u32 v9, 0, v3
	v_mul_hi_u32 v10, 24, v3
	v_mul_lo_u32 v3, 24, v3
	s_delay_alu instid0(VALU_DEP_3) | instskip(SKIP_1) | instid1(VALU_DEP_2)
	v_add_nc_u32_e32 v4, v4, v9
	s_wait_loadcnt 0x0
	v_add_co_u32 v3, vcc_lo, v7, v3
	s_delay_alu instid0(VALU_DEP_2) | instskip(SKIP_1) | instid1(VALU_DEP_1)
	v_add_nc_u32_e32 v4, v4, v10
	s_wait_alu 0xfffd
	v_add_co_ci_u32_e64 v4, null, v8, v4, vcc_lo
	global_load_b64 v[3:4], v[3:4], off scope:SCOPE_SYS
	s_wait_loadcnt 0x0
	global_atomic_cmpswap_b64 v[8:9], v2, v[3:6], s[2:3] offset:24 th:TH_ATOMIC_RETURN scope:SCOPE_SYS
	s_wait_loadcnt 0x0
	global_inv scope:SCOPE_SYS
	v_cmpx_ne_u64_e64 v[8:9], v[5:6]
	s_cbranch_execz .LBB6_1952
; %bb.1949:
	s_mov_b32 s5, 0
.LBB6_1950:                             ; =>This Inner Loop Header: Depth=1
	s_sleep 1
	s_clause 0x1
	global_load_b64 v[3:4], v2, s[2:3] offset:40
	global_load_b64 v[10:11], v2, s[2:3]
	v_dual_mov_b32 v5, v8 :: v_dual_mov_b32 v6, v9
	s_wait_loadcnt 0x1
	s_delay_alu instid0(VALU_DEP_1) | instskip(NEXT) | instid1(VALU_DEP_2)
	v_and_b32_e32 v3, v3, v5
	v_and_b32_e32 v4, v4, v6
	s_wait_loadcnt 0x0
	s_delay_alu instid0(VALU_DEP_2) | instskip(NEXT) | instid1(VALU_DEP_1)
	v_mad_co_u64_u32 v[7:8], null, v3, 24, v[10:11]
	v_mov_b32_e32 v3, v8
	s_delay_alu instid0(VALU_DEP_1) | instskip(NEXT) | instid1(VALU_DEP_1)
	v_mad_co_u64_u32 v[3:4], null, v4, 24, v[3:4]
	v_mov_b32_e32 v8, v3
	global_load_b64 v[3:4], v[7:8], off scope:SCOPE_SYS
	s_wait_loadcnt 0x0
	global_atomic_cmpswap_b64 v[8:9], v2, v[3:6], s[2:3] offset:24 th:TH_ATOMIC_RETURN scope:SCOPE_SYS
	s_wait_loadcnt 0x0
	global_inv scope:SCOPE_SYS
	v_cmp_eq_u64_e32 vcc_lo, v[8:9], v[5:6]
	s_wait_alu 0xfffe
	s_or_b32 s5, vcc_lo, s5
	s_wait_alu 0xfffe
	s_and_not1_b32 exec_lo, exec_lo, s5
	s_cbranch_execnz .LBB6_1950
; %bb.1951:
	s_or_b32 exec_lo, exec_lo, s5
.LBB6_1952:
	s_wait_alu 0xfffe
	s_or_b32 exec_lo, exec_lo, s4
.LBB6_1953:
	s_wait_alu 0xfffe
	s_or_b32 exec_lo, exec_lo, s1
	v_readfirstlane_b32 s5, v9
	v_mov_b32_e32 v2, 0
	v_readfirstlane_b32 s4, v8
	s_mov_b32 s1, exec_lo
	s_clause 0x1
	global_load_b64 v[10:11], v2, s[2:3] offset:40
	global_load_b128 v[4:7], v2, s[2:3]
	s_wait_loadcnt 0x1
	s_wait_alu 0xf1ff
	v_and_b32_e32 v11, s5, v11
	v_and_b32_e32 v10, s4, v10
	s_delay_alu instid0(VALU_DEP_2) | instskip(NEXT) | instid1(VALU_DEP_2)
	v_mul_lo_u32 v3, 24, v11
	v_mul_lo_u32 v8, 0, v10
	v_mul_hi_u32 v9, 24, v10
	v_mul_lo_u32 v12, 24, v10
	s_delay_alu instid0(VALU_DEP_3) | instskip(SKIP_1) | instid1(VALU_DEP_2)
	v_add_nc_u32_e32 v3, v3, v8
	s_wait_loadcnt 0x0
	v_add_co_u32 v8, vcc_lo, v4, v12
	s_delay_alu instid0(VALU_DEP_2) | instskip(SKIP_1) | instid1(VALU_DEP_1)
	v_add_nc_u32_e32 v3, v3, v9
	s_wait_alu 0xfffd
	v_add_co_ci_u32_e64 v9, null, v5, v3, vcc_lo
	s_and_saveexec_b32 s6, s0
	s_cbranch_execz .LBB6_1955
; %bb.1954:
	s_wait_alu 0xfffe
	v_dual_mov_b32 v12, s1 :: v_dual_mov_b32 v13, v2
	v_dual_mov_b32 v14, 2 :: v_dual_mov_b32 v15, 1
	global_store_b128 v[8:9], v[12:15], off offset:8
.LBB6_1955:
	s_wait_alu 0xfffe
	s_or_b32 exec_lo, exec_lo, s6
	v_lshlrev_b64_e32 v[10:11], 12, v[10:11]
	s_mov_b32 s8, 0
	v_and_or_b32 v0, 0xffffff1d, v0, 34
	s_wait_alu 0xfffe
	s_mov_b32 s11, s8
	s_mov_b32 s9, s8
	;; [unrolled: 1-line block ×3, first 2 shown]
	v_add_co_u32 v6, vcc_lo, v6, v10
	s_wait_alu 0xfffd
	v_add_co_ci_u32_e64 v7, null, v7, v11, vcc_lo
	v_mov_b32_e32 v3, v2
	s_delay_alu instid0(VALU_DEP_3)
	v_readfirstlane_b32 s6, v6
	s_wait_alu 0xfffe
	v_dual_mov_b32 v13, s11 :: v_dual_mov_b32 v10, s8
	v_readfirstlane_b32 s7, v7
	v_dual_mov_b32 v12, s10 :: v_dual_mov_b32 v11, s9
	s_clause 0x3
	global_store_b128 v30, v[0:3], s[6:7]
	global_store_b128 v30, v[10:13], s[6:7] offset:16
	global_store_b128 v30, v[10:13], s[6:7] offset:32
	;; [unrolled: 1-line block ×3, first 2 shown]
	s_and_saveexec_b32 s1, s0
	s_cbranch_execz .LBB6_1963
; %bb.1956:
	v_mov_b32_e32 v6, 0
	s_mov_b32 s6, exec_lo
	s_clause 0x1
	global_load_b64 v[12:13], v6, s[2:3] offset:32 scope:SCOPE_SYS
	global_load_b64 v[0:1], v6, s[2:3] offset:40
	v_dual_mov_b32 v11, s5 :: v_dual_mov_b32 v10, s4
	s_wait_loadcnt 0x0
	v_and_b32_e32 v1, s5, v1
	v_and_b32_e32 v0, s4, v0
	s_delay_alu instid0(VALU_DEP_2) | instskip(NEXT) | instid1(VALU_DEP_2)
	v_mul_lo_u32 v1, 24, v1
	v_mul_lo_u32 v2, 0, v0
	v_mul_hi_u32 v3, 24, v0
	v_mul_lo_u32 v0, 24, v0
	s_delay_alu instid0(VALU_DEP_3) | instskip(NEXT) | instid1(VALU_DEP_2)
	v_add_nc_u32_e32 v1, v1, v2
	v_add_co_u32 v4, vcc_lo, v4, v0
	s_delay_alu instid0(VALU_DEP_2) | instskip(SKIP_1) | instid1(VALU_DEP_1)
	v_add_nc_u32_e32 v1, v1, v3
	s_wait_alu 0xfffd
	v_add_co_ci_u32_e64 v5, null, v5, v1, vcc_lo
	global_store_b64 v[4:5], v[12:13], off
	global_wb scope:SCOPE_SYS
	s_wait_storecnt 0x0
	global_atomic_cmpswap_b64 v[2:3], v6, v[10:13], s[2:3] offset:32 th:TH_ATOMIC_RETURN scope:SCOPE_SYS
	s_wait_loadcnt 0x0
	v_cmpx_ne_u64_e64 v[2:3], v[12:13]
	s_cbranch_execz .LBB6_1959
; %bb.1957:
	s_mov_b32 s7, 0
.LBB6_1958:                             ; =>This Inner Loop Header: Depth=1
	v_dual_mov_b32 v0, s4 :: v_dual_mov_b32 v1, s5
	s_sleep 1
	global_store_b64 v[4:5], v[2:3], off
	global_wb scope:SCOPE_SYS
	s_wait_storecnt 0x0
	global_atomic_cmpswap_b64 v[0:1], v6, v[0:3], s[2:3] offset:32 th:TH_ATOMIC_RETURN scope:SCOPE_SYS
	s_wait_loadcnt 0x0
	v_cmp_eq_u64_e32 vcc_lo, v[0:1], v[2:3]
	v_dual_mov_b32 v3, v1 :: v_dual_mov_b32 v2, v0
	s_wait_alu 0xfffe
	s_or_b32 s7, vcc_lo, s7
	s_wait_alu 0xfffe
	s_and_not1_b32 exec_lo, exec_lo, s7
	s_cbranch_execnz .LBB6_1958
.LBB6_1959:
	s_wait_alu 0xfffe
	s_or_b32 exec_lo, exec_lo, s6
	v_mov_b32_e32 v3, 0
	s_mov_b32 s7, exec_lo
	s_mov_b32 s6, exec_lo
	s_wait_alu 0xfffe
	v_mbcnt_lo_u32_b32 v2, s7, 0
	global_load_b64 v[0:1], v3, s[2:3] offset:16
	v_cmpx_eq_u32_e32 0, v2
	s_cbranch_execz .LBB6_1961
; %bb.1960:
	s_bcnt1_i32_b32 s7, s7
	s_wait_alu 0xfffe
	v_mov_b32_e32 v2, s7
	global_wb scope:SCOPE_SYS
	s_wait_loadcnt 0x0
	s_wait_storecnt 0x0
	global_atomic_add_u64 v[0:1], v[2:3], off offset:8 scope:SCOPE_SYS
.LBB6_1961:
	s_or_b32 exec_lo, exec_lo, s6
	s_wait_loadcnt 0x0
	global_load_b64 v[2:3], v[0:1], off offset:16
	s_wait_loadcnt 0x0
	v_cmp_eq_u64_e32 vcc_lo, 0, v[2:3]
	s_cbranch_vccnz .LBB6_1963
; %bb.1962:
	global_load_b32 v0, v[0:1], off offset:24
	v_mov_b32_e32 v1, 0
	s_wait_loadcnt 0x0
	v_readfirstlane_b32 s6, v0
	global_wb scope:SCOPE_SYS
	s_wait_storecnt 0x0
	global_store_b64 v[2:3], v[0:1], off scope:SCOPE_SYS
	s_and_b32 m0, s6, 0xffffff
	s_sendmsg sendmsg(MSG_INTERRUPT)
.LBB6_1963:
	s_wait_alu 0xfffe
	s_or_b32 exec_lo, exec_lo, s1
	s_branch .LBB6_1967
.LBB6_1964:                             ;   in Loop: Header=BB6_1967 Depth=1
	s_wait_alu 0xfffe
	s_or_b32 exec_lo, exec_lo, s1
	s_delay_alu instid0(VALU_DEP_1)
	v_readfirstlane_b32 s1, v0
	s_cmp_eq_u32 s1, 0
	s_cbranch_scc1 .LBB6_1966
; %bb.1965:                             ;   in Loop: Header=BB6_1967 Depth=1
	s_sleep 1
	s_cbranch_execnz .LBB6_1967
	s_branch .LBB6_1969
.LBB6_1966:
	s_branch .LBB6_1969
.LBB6_1967:                             ; =>This Inner Loop Header: Depth=1
	v_mov_b32_e32 v0, 1
	s_and_saveexec_b32 s1, s0
	s_cbranch_execz .LBB6_1964
; %bb.1968:                             ;   in Loop: Header=BB6_1967 Depth=1
	global_load_b32 v0, v[8:9], off offset:20 scope:SCOPE_SYS
	s_wait_loadcnt 0x0
	global_inv scope:SCOPE_SYS
	v_and_b32_e32 v0, 1, v0
	s_branch .LBB6_1964
.LBB6_1969:
	s_and_saveexec_b32 s6, s0
	s_cbranch_execz .LBB6_1973
; %bb.1970:
	v_mov_b32_e32 v6, 0
	s_clause 0x2
	global_load_b64 v[0:1], v6, s[2:3] offset:40
	global_load_b64 v[9:10], v6, s[2:3] offset:24 scope:SCOPE_SYS
	global_load_b64 v[2:3], v6, s[2:3]
	s_wait_loadcnt 0x2
	v_readfirstlane_b32 s8, v0
	v_readfirstlane_b32 s9, v1
	s_add_nc_u64 s[0:1], s[8:9], 1
	s_wait_alu 0xfffe
	s_add_nc_u64 s[4:5], s[0:1], s[4:5]
	s_wait_alu 0xfffe
	s_cmp_eq_u64 s[4:5], 0
	s_cselect_b32 s1, s1, s5
	s_cselect_b32 s0, s0, s4
	s_wait_alu 0xfffe
	v_mov_b32_e32 v8, s1
	s_and_b64 s[4:5], s[0:1], s[8:9]
	v_mov_b32_e32 v7, s0
	s_wait_alu 0xfffe
	s_mul_u64 s[4:5], s[4:5], 24
	s_wait_loadcnt 0x0
	s_wait_alu 0xfffe
	v_add_co_u32 v4, vcc_lo, v2, s4
	s_wait_alu 0xfffd
	v_add_co_ci_u32_e64 v5, null, s5, v3, vcc_lo
	global_store_b64 v[4:5], v[9:10], off
	global_wb scope:SCOPE_SYS
	s_wait_storecnt 0x0
	global_atomic_cmpswap_b64 v[2:3], v6, v[7:10], s[2:3] offset:24 th:TH_ATOMIC_RETURN scope:SCOPE_SYS
	s_wait_loadcnt 0x0
	v_cmp_ne_u64_e32 vcc_lo, v[2:3], v[9:10]
	s_and_b32 exec_lo, exec_lo, vcc_lo
	s_cbranch_execz .LBB6_1973
; %bb.1971:
	s_mov_b32 s4, 0
.LBB6_1972:                             ; =>This Inner Loop Header: Depth=1
	v_dual_mov_b32 v0, s0 :: v_dual_mov_b32 v1, s1
	s_sleep 1
	global_store_b64 v[4:5], v[2:3], off
	global_wb scope:SCOPE_SYS
	s_wait_storecnt 0x0
	global_atomic_cmpswap_b64 v[0:1], v6, v[0:3], s[2:3] offset:24 th:TH_ATOMIC_RETURN scope:SCOPE_SYS
	s_wait_loadcnt 0x0
	v_cmp_eq_u64_e32 vcc_lo, v[0:1], v[2:3]
	v_dual_mov_b32 v3, v1 :: v_dual_mov_b32 v2, v0
	s_wait_alu 0xfffe
	s_or_b32 s4, vcc_lo, s4
	s_wait_alu 0xfffe
	s_and_not1_b32 exec_lo, exec_lo, s4
	s_cbranch_execnz .LBB6_1972
.LBB6_1973:
	s_wait_alu 0xfffe
	s_or_b32 exec_lo, exec_lo, s6
.LBB6_1974:
	s_getpc_b64 s[0:1]
	s_wait_alu 0xfffe
	s_sext_i32_i16 s1, s1
	s_add_co_u32 s0, s0, .str.29@rel32@lo+12
	s_wait_alu 0xfffe
	s_add_co_ci_u32 s1, s1, .str.29@rel32@hi+24
	s_getpc_b64 s[2:3]
	s_wait_alu 0xfffe
	s_sext_i32_i16 s3, s3
	s_add_co_u32 s2, s2, .str.19@rel32@lo+12
	s_wait_alu 0xfffe
	s_add_co_ci_u32 s3, s3, .str.19@rel32@hi+24
	s_getpc_b64 s[4:5]
	s_wait_alu 0xfffe
	s_sext_i32_i16 s5, s5
	s_add_co_u32 s4, s4, __PRETTY_FUNCTION__._ZN7VecsMemIjLi8192EE5fetchEi@rel32@lo+12
	s_wait_alu 0xfffe
	s_add_co_ci_u32 s5, s5, __PRETTY_FUNCTION__._ZN7VecsMemIjLi8192EE5fetchEi@rel32@hi+24
	s_wait_loadcnt 0x0
	v_dual_mov_b32 v0, s0 :: v_dual_mov_b32 v1, s1
	v_dual_mov_b32 v2, s2 :: v_dual_mov_b32 v3, s3
	;; [unrolled: 1-line block ×3, first 2 shown]
	s_wait_alu 0xfffe
	v_mov_b32_e32 v6, s5
	s_getpc_b64 s[6:7]
	s_wait_alu 0xfffe
	s_sext_i32_i16 s7, s7
	s_add_co_u32 s6, s6, __assert_fail@rel32@lo+12
	s_wait_alu 0xfffe
	s_add_co_ci_u32 s7, s7, __assert_fail@rel32@hi+24
	s_mov_b64 s[8:9], s[52:53]
	s_wait_alu 0xfffe
	s_swappc_b64 s[30:31], s[6:7]
	s_or_b32 s0, s23, exec_lo
.LBB6_1975:
	s_or_b32 exec_lo, exec_lo, s41
	s_delay_alu instid0(SALU_CYCLE_1)
	s_and_not1_b32 s1, s23, exec_lo
	s_wait_alu 0xfffe
	s_and_b32 s0, s0, exec_lo
	s_wait_alu 0xfffe
	s_or_b32 s67, s1, s0
	s_or_not1_b32 s1, s29, exec_lo
.LBB6_1976:
	s_wait_alu 0xfffe
	s_or_b32 exec_lo, exec_lo, s28
	s_mov_b32 s0, 0
	s_mov_b32 s2, s24
                                        ; implicit-def: $vgpr41
	s_and_saveexec_b32 s68, s1
	s_cbranch_execz .LBB6_2343
; %bb.1977:
	v_mov_b32_e32 v80, 0
	v_dual_mov_b32 v0, 0 :: v_dual_mov_b32 v81, 0
	s_mov_b32 s2, -1
	s_mov_b32 s69, s67
	s_clause 0x1
	scratch_store_b64 off, v[68:69], s33 offset:80
	scratch_store_b32 off, v0, s33 offset:92
	s_and_saveexec_b32 s28, s17
	s_cbranch_execz .LBB6_2124
; %bb.1978:
	flat_load_b32 v0, v[44:45]
	v_mov_b32_e32 v80, 0
	s_mov_b32 s17, 0
	s_mov_b32 s0, exec_lo
	s_wait_loadcnt_dscnt 0x0
	v_dual_mov_b32 v81, 0 :: v_dual_add_nc_u32 v0, v0, v70
	s_delay_alu instid0(VALU_DEP_1)
	v_cmpx_gt_i32_e32 0x2001, v0
	s_wait_alu 0xfffe
	s_xor_b32 s0, exec_lo, s0
	s_cbranch_execz .LBB6_1980
; %bb.1979:
	v_ashrrev_i32_e32 v1, 31, v0
	v_mov_b32_e32 v71, 0
	s_mov_b32 s17, exec_lo
	flat_store_b32 v[44:45], v0
	v_lshlrev_b64_e32 v[1:2], 2, v[0:1]
	v_lshlrev_b64_e32 v[3:4], 2, v[70:71]
	s_delay_alu instid0(VALU_DEP_2) | instskip(SKIP_1) | instid1(VALU_DEP_3)
	v_add_co_u32 v1, vcc_lo, v44, v1
	s_wait_alu 0xfffd
	v_add_co_ci_u32_e64 v2, null, v45, v2, vcc_lo
	s_delay_alu instid0(VALU_DEP_2) | instskip(SKIP_1) | instid1(VALU_DEP_2)
	v_sub_co_u32 v1, vcc_lo, v1, v3
	s_wait_alu 0xfffd
	v_sub_co_ci_u32_e64 v2, null, v2, v4, vcc_lo
	s_delay_alu instid0(VALU_DEP_2) | instskip(SKIP_1) | instid1(VALU_DEP_2)
	v_add_co_u32 v80, vcc_lo, v1, 4
	s_wait_alu 0xfffd
	v_add_co_ci_u32_e64 v81, null, 0, v2, vcc_lo
.LBB6_1980:
	s_wait_alu 0xfffe
	s_or_saveexec_b32 s29, s0
	s_mov_b32 s0, s67
	s_wait_alu 0xfffe
	s_xor_b32 exec_lo, exec_lo, s29
	s_cbranch_execz .LBB6_2123
; %bb.1981:
	s_load_b64 s[2:3], s[52:53], 0x50
	v_mbcnt_lo_u32_b32 v31, -1, 0
	v_mov_b32_e32 v6, 0
	v_mov_b32_e32 v7, 0
	s_delay_alu instid0(VALU_DEP_3) | instskip(SKIP_1) | instid1(VALU_DEP_1)
	v_readfirstlane_b32 s0, v31
	s_wait_alu 0xf1ff
	v_cmp_eq_u32_e64 s0, s0, v31
	s_and_saveexec_b32 s1, s0
	s_cbranch_execz .LBB6_1987
; %bb.1982:
	v_mov_b32_e32 v0, 0
	s_mov_b32 s4, exec_lo
	s_wait_kmcnt 0x0
	global_load_b64 v[3:4], v0, s[2:3] offset:24 scope:SCOPE_SYS
	s_wait_loadcnt 0x0
	global_inv scope:SCOPE_SYS
	s_clause 0x1
	global_load_b64 v[1:2], v0, s[2:3] offset:40
	global_load_b64 v[5:6], v0, s[2:3]
	s_wait_loadcnt 0x1
	v_and_b32_e32 v2, v2, v4
	v_and_b32_e32 v1, v1, v3
	s_delay_alu instid0(VALU_DEP_2) | instskip(NEXT) | instid1(VALU_DEP_2)
	v_mul_lo_u32 v2, 24, v2
	v_mul_lo_u32 v7, 0, v1
	v_mul_hi_u32 v8, 24, v1
	v_mul_lo_u32 v1, 24, v1
	s_delay_alu instid0(VALU_DEP_3) | instskip(SKIP_1) | instid1(VALU_DEP_2)
	v_add_nc_u32_e32 v2, v2, v7
	s_wait_loadcnt 0x0
	v_add_co_u32 v1, vcc_lo, v5, v1
	s_delay_alu instid0(VALU_DEP_2) | instskip(SKIP_1) | instid1(VALU_DEP_1)
	v_add_nc_u32_e32 v2, v2, v8
	s_wait_alu 0xfffd
	v_add_co_ci_u32_e64 v2, null, v6, v2, vcc_lo
	global_load_b64 v[1:2], v[1:2], off scope:SCOPE_SYS
	s_wait_loadcnt 0x0
	global_atomic_cmpswap_b64 v[6:7], v0, v[1:4], s[2:3] offset:24 th:TH_ATOMIC_RETURN scope:SCOPE_SYS
	s_wait_loadcnt 0x0
	global_inv scope:SCOPE_SYS
	v_cmpx_ne_u64_e64 v[6:7], v[3:4]
	s_cbranch_execz .LBB6_1986
; %bb.1983:
	s_mov_b32 s5, 0
.LBB6_1984:                             ; =>This Inner Loop Header: Depth=1
	s_sleep 1
	s_clause 0x1
	global_load_b64 v[1:2], v0, s[2:3] offset:40
	global_load_b64 v[8:9], v0, s[2:3]
	v_dual_mov_b32 v3, v6 :: v_dual_mov_b32 v4, v7
	s_wait_loadcnt 0x1
	s_delay_alu instid0(VALU_DEP_1) | instskip(NEXT) | instid1(VALU_DEP_2)
	v_and_b32_e32 v1, v1, v3
	v_and_b32_e32 v2, v2, v4
	s_wait_loadcnt 0x0
	s_delay_alu instid0(VALU_DEP_2) | instskip(NEXT) | instid1(VALU_DEP_1)
	v_mad_co_u64_u32 v[5:6], null, v1, 24, v[8:9]
	v_mov_b32_e32 v1, v6
	s_delay_alu instid0(VALU_DEP_1) | instskip(NEXT) | instid1(VALU_DEP_1)
	v_mad_co_u64_u32 v[1:2], null, v2, 24, v[1:2]
	v_mov_b32_e32 v6, v1
	global_load_b64 v[1:2], v[5:6], off scope:SCOPE_SYS
	s_wait_loadcnt 0x0
	global_atomic_cmpswap_b64 v[6:7], v0, v[1:4], s[2:3] offset:24 th:TH_ATOMIC_RETURN scope:SCOPE_SYS
	s_wait_loadcnt 0x0
	global_inv scope:SCOPE_SYS
	v_cmp_eq_u64_e32 vcc_lo, v[6:7], v[3:4]
	s_wait_alu 0xfffe
	s_or_b32 s5, vcc_lo, s5
	s_wait_alu 0xfffe
	s_and_not1_b32 exec_lo, exec_lo, s5
	s_cbranch_execnz .LBB6_1984
; %bb.1985:
	s_or_b32 exec_lo, exec_lo, s5
.LBB6_1986:
	s_wait_alu 0xfffe
	s_or_b32 exec_lo, exec_lo, s4
.LBB6_1987:
	s_wait_alu 0xfffe
	s_or_b32 exec_lo, exec_lo, s1
	v_readfirstlane_b32 s4, v6
	v_mov_b32_e32 v5, 0
	v_readfirstlane_b32 s5, v7
	s_mov_b32 s1, exec_lo
	s_wait_kmcnt 0x0
	s_clause 0x1
	global_load_b64 v[8:9], v5, s[2:3] offset:40
	global_load_b128 v[0:3], v5, s[2:3]
	s_wait_loadcnt 0x1
	s_wait_alu 0xf1ff
	v_and_b32_e32 v11, s5, v9
	v_and_b32_e32 v10, s4, v8
	s_delay_alu instid0(VALU_DEP_2) | instskip(NEXT) | instid1(VALU_DEP_2)
	v_mul_lo_u32 v4, 24, v11
	v_mul_lo_u32 v6, 0, v10
	v_mul_hi_u32 v7, 24, v10
	v_mul_lo_u32 v8, 24, v10
	s_delay_alu instid0(VALU_DEP_3) | instskip(SKIP_1) | instid1(VALU_DEP_2)
	v_add_nc_u32_e32 v4, v4, v6
	s_wait_loadcnt 0x0
	v_add_co_u32 v8, vcc_lo, v0, v8
	s_delay_alu instid0(VALU_DEP_2) | instskip(SKIP_1) | instid1(VALU_DEP_1)
	v_add_nc_u32_e32 v4, v4, v7
	s_wait_alu 0xfffd
	v_add_co_ci_u32_e64 v9, null, v1, v4, vcc_lo
	s_and_saveexec_b32 s6, s0
	s_cbranch_execz .LBB6_1989
; %bb.1988:
	s_wait_alu 0xfffe
	v_dual_mov_b32 v4, s1 :: v_dual_mov_b32 v7, 1
	v_mov_b32_e32 v6, 2
	global_store_b128 v[8:9], v[4:7], off offset:8
.LBB6_1989:
	s_wait_alu 0xfffe
	s_or_b32 exec_lo, exec_lo, s6
	v_lshlrev_b64_e32 v[10:11], 12, v[10:11]
	v_dual_mov_b32 v7, v5 :: v_dual_lshlrev_b32 v30, 6, v31
	s_mov_b32 s8, 0
	s_wait_alu 0xfffe
	s_mov_b32 s11, s8
	s_delay_alu instid0(VALU_DEP_2)
	v_add_co_u32 v2, vcc_lo, v2, v10
	s_wait_alu 0xfffd
	v_add_co_ci_u32_e64 v3, null, v3, v11, vcc_lo
	s_mov_b32 s9, s8
	v_add_co_u32 v10, vcc_lo, v2, v30
	s_mov_b32 s10, s8
	s_wait_alu 0xfffe
	v_dual_mov_b32 v4, 33 :: v_dual_mov_b32 v15, s11
	v_dual_mov_b32 v6, v5 :: v_dual_mov_b32 v13, s9
	v_readfirstlane_b32 s6, v2
	v_readfirstlane_b32 s7, v3
	s_wait_alu 0xfffd
	v_add_co_ci_u32_e64 v11, null, 0, v3, vcc_lo
	v_mov_b32_e32 v14, s10
	v_mov_b32_e32 v12, s8
	s_clause 0x3
	global_store_b128 v30, v[4:7], s[6:7]
	global_store_b128 v30, v[12:15], s[6:7] offset:16
	global_store_b128 v30, v[12:15], s[6:7] offset:32
	global_store_b128 v30, v[12:15], s[6:7] offset:48
	s_and_saveexec_b32 s1, s0
	s_cbranch_execz .LBB6_1997
; %bb.1990:
	v_mov_b32_e32 v6, 0
	s_mov_b32 s6, exec_lo
	s_clause 0x1
	global_load_b64 v[14:15], v6, s[2:3] offset:32 scope:SCOPE_SYS
	global_load_b64 v[2:3], v6, s[2:3] offset:40
	v_dual_mov_b32 v13, s5 :: v_dual_mov_b32 v12, s4
	s_wait_loadcnt 0x0
	v_and_b32_e32 v3, s5, v3
	v_and_b32_e32 v2, s4, v2
	s_delay_alu instid0(VALU_DEP_2) | instskip(NEXT) | instid1(VALU_DEP_2)
	v_mul_lo_u32 v3, 24, v3
	v_mul_lo_u32 v4, 0, v2
	v_mul_hi_u32 v5, 24, v2
	v_mul_lo_u32 v2, 24, v2
	s_delay_alu instid0(VALU_DEP_3) | instskip(NEXT) | instid1(VALU_DEP_2)
	v_add_nc_u32_e32 v3, v3, v4
	v_add_co_u32 v4, vcc_lo, v0, v2
	s_delay_alu instid0(VALU_DEP_2) | instskip(SKIP_1) | instid1(VALU_DEP_1)
	v_add_nc_u32_e32 v3, v3, v5
	s_wait_alu 0xfffd
	v_add_co_ci_u32_e64 v5, null, v1, v3, vcc_lo
	global_store_b64 v[4:5], v[14:15], off
	global_wb scope:SCOPE_SYS
	s_wait_storecnt 0x0
	global_atomic_cmpswap_b64 v[2:3], v6, v[12:15], s[2:3] offset:32 th:TH_ATOMIC_RETURN scope:SCOPE_SYS
	s_wait_loadcnt 0x0
	v_cmpx_ne_u64_e64 v[2:3], v[14:15]
	s_cbranch_execz .LBB6_1993
; %bb.1991:
	s_mov_b32 s7, 0
.LBB6_1992:                             ; =>This Inner Loop Header: Depth=1
	v_dual_mov_b32 v0, s4 :: v_dual_mov_b32 v1, s5
	s_sleep 1
	global_store_b64 v[4:5], v[2:3], off
	global_wb scope:SCOPE_SYS
	s_wait_storecnt 0x0
	global_atomic_cmpswap_b64 v[0:1], v6, v[0:3], s[2:3] offset:32 th:TH_ATOMIC_RETURN scope:SCOPE_SYS
	s_wait_loadcnt 0x0
	v_cmp_eq_u64_e32 vcc_lo, v[0:1], v[2:3]
	v_dual_mov_b32 v3, v1 :: v_dual_mov_b32 v2, v0
	s_wait_alu 0xfffe
	s_or_b32 s7, vcc_lo, s7
	s_wait_alu 0xfffe
	s_and_not1_b32 exec_lo, exec_lo, s7
	s_cbranch_execnz .LBB6_1992
.LBB6_1993:
	s_wait_alu 0xfffe
	s_or_b32 exec_lo, exec_lo, s6
	v_mov_b32_e32 v3, 0
	s_mov_b32 s7, exec_lo
	s_mov_b32 s6, exec_lo
	s_wait_alu 0xfffe
	v_mbcnt_lo_u32_b32 v2, s7, 0
	global_load_b64 v[0:1], v3, s[2:3] offset:16
	v_cmpx_eq_u32_e32 0, v2
	s_cbranch_execz .LBB6_1995
; %bb.1994:
	s_bcnt1_i32_b32 s7, s7
	s_wait_alu 0xfffe
	v_mov_b32_e32 v2, s7
	global_wb scope:SCOPE_SYS
	s_wait_loadcnt 0x0
	s_wait_storecnt 0x0
	global_atomic_add_u64 v[0:1], v[2:3], off offset:8 scope:SCOPE_SYS
.LBB6_1995:
	s_or_b32 exec_lo, exec_lo, s6
	s_wait_loadcnt 0x0
	global_load_b64 v[2:3], v[0:1], off offset:16
	s_wait_loadcnt 0x0
	v_cmp_eq_u64_e32 vcc_lo, 0, v[2:3]
	s_cbranch_vccnz .LBB6_1997
; %bb.1996:
	global_load_b32 v0, v[0:1], off offset:24
	v_mov_b32_e32 v1, 0
	s_wait_loadcnt 0x0
	v_readfirstlane_b32 s6, v0
	global_wb scope:SCOPE_SYS
	s_wait_storecnt 0x0
	global_store_b64 v[2:3], v[0:1], off scope:SCOPE_SYS
	s_and_b32 m0, s6, 0xffffff
	s_sendmsg sendmsg(MSG_INTERRUPT)
.LBB6_1997:
	s_wait_alu 0xfffe
	s_or_b32 exec_lo, exec_lo, s1
	s_branch .LBB6_2001
.LBB6_1998:                             ;   in Loop: Header=BB6_2001 Depth=1
	s_wait_alu 0xfffe
	s_or_b32 exec_lo, exec_lo, s1
	s_delay_alu instid0(VALU_DEP_1)
	v_readfirstlane_b32 s1, v0
	s_cmp_eq_u32 s1, 0
	s_cbranch_scc1 .LBB6_2000
; %bb.1999:                             ;   in Loop: Header=BB6_2001 Depth=1
	s_sleep 1
	s_cbranch_execnz .LBB6_2001
	s_branch .LBB6_2003
.LBB6_2000:
	s_branch .LBB6_2003
.LBB6_2001:                             ; =>This Inner Loop Header: Depth=1
	v_mov_b32_e32 v0, 1
	s_and_saveexec_b32 s1, s0
	s_cbranch_execz .LBB6_1998
; %bb.2002:                             ;   in Loop: Header=BB6_2001 Depth=1
	global_load_b32 v0, v[8:9], off offset:20 scope:SCOPE_SYS
	s_wait_loadcnt 0x0
	global_inv scope:SCOPE_SYS
	v_and_b32_e32 v0, 1, v0
	s_branch .LBB6_1998
.LBB6_2003:
	global_load_b64 v[0:1], v[10:11], off
	s_and_saveexec_b32 s6, s0
	s_cbranch_execz .LBB6_2007
; %bb.2004:
	v_mov_b32_e32 v8, 0
	s_clause 0x2
	global_load_b64 v[2:3], v8, s[2:3] offset:40
	global_load_b64 v[11:12], v8, s[2:3] offset:24 scope:SCOPE_SYS
	global_load_b64 v[4:5], v8, s[2:3]
	s_wait_loadcnt 0x2
	v_readfirstlane_b32 s8, v2
	v_readfirstlane_b32 s9, v3
	s_add_nc_u64 s[0:1], s[8:9], 1
	s_wait_alu 0xfffe
	s_add_nc_u64 s[4:5], s[0:1], s[4:5]
	s_wait_alu 0xfffe
	s_cmp_eq_u64 s[4:5], 0
	s_cselect_b32 s1, s1, s5
	s_cselect_b32 s0, s0, s4
	s_wait_alu 0xfffe
	v_mov_b32_e32 v10, s1
	s_and_b64 s[4:5], s[0:1], s[8:9]
	v_mov_b32_e32 v9, s0
	s_wait_alu 0xfffe
	s_mul_u64 s[4:5], s[4:5], 24
	s_wait_loadcnt 0x0
	s_wait_alu 0xfffe
	v_add_co_u32 v6, vcc_lo, v4, s4
	s_wait_alu 0xfffd
	v_add_co_ci_u32_e64 v7, null, s5, v5, vcc_lo
	global_store_b64 v[6:7], v[11:12], off
	global_wb scope:SCOPE_SYS
	s_wait_storecnt 0x0
	global_atomic_cmpswap_b64 v[4:5], v8, v[9:12], s[2:3] offset:24 th:TH_ATOMIC_RETURN scope:SCOPE_SYS
	s_wait_loadcnt 0x0
	v_cmp_ne_u64_e32 vcc_lo, v[4:5], v[11:12]
	s_and_b32 exec_lo, exec_lo, vcc_lo
	s_cbranch_execz .LBB6_2007
; %bb.2005:
	s_mov_b32 s4, 0
.LBB6_2006:                             ; =>This Inner Loop Header: Depth=1
	v_dual_mov_b32 v2, s0 :: v_dual_mov_b32 v3, s1
	s_sleep 1
	global_store_b64 v[6:7], v[4:5], off
	global_wb scope:SCOPE_SYS
	s_wait_storecnt 0x0
	global_atomic_cmpswap_b64 v[2:3], v8, v[2:5], s[2:3] offset:24 th:TH_ATOMIC_RETURN scope:SCOPE_SYS
	s_wait_loadcnt 0x0
	v_cmp_eq_u64_e32 vcc_lo, v[2:3], v[4:5]
	v_dual_mov_b32 v5, v3 :: v_dual_mov_b32 v4, v2
	s_wait_alu 0xfffe
	s_or_b32 s4, vcc_lo, s4
	s_wait_alu 0xfffe
	s_and_not1_b32 exec_lo, exec_lo, s4
	s_cbranch_execnz .LBB6_2006
.LBB6_2007:
	s_wait_alu 0xfffe
	s_or_b32 exec_lo, exec_lo, s6
	s_getpc_b64 s[4:5]
	s_wait_alu 0xfffe
	s_sext_i32_i16 s5, s5
	s_add_co_u32 s4, s4, .str.28@rel32@lo+12
	s_wait_alu 0xfffe
	s_add_co_ci_u32 s5, s5, .str.28@rel32@hi+24
	s_wait_alu 0xfffe
	s_cmp_lg_u64 s[4:5], 0
	s_cbranch_scc0 .LBB6_2093
; %bb.2008:
	s_wait_loadcnt 0x0
	v_dual_mov_b32 v7, v1 :: v_dual_and_b32 v6, -3, v0
	v_dual_mov_b32 v3, 0 :: v_dual_mov_b32 v4, 2
	v_mov_b32_e32 v5, 1
	s_mov_b64 s[6:7], 35
	s_branch .LBB6_2010
.LBB6_2009:                             ;   in Loop: Header=BB6_2010 Depth=1
	s_wait_alu 0xfffe
	s_or_b32 exec_lo, exec_lo, s12
	s_sub_nc_u64 s[6:7], s[6:7], s[8:9]
	s_add_nc_u64 s[4:5], s[4:5], s[8:9]
	s_wait_alu 0xfffe
	s_cmp_lg_u64 s[6:7], 0
	s_cbranch_scc0 .LBB6_2092
.LBB6_2010:                             ; =>This Loop Header: Depth=1
                                        ;     Child Loop BB6_2013 Depth 2
                                        ;     Child Loop BB6_2021 Depth 2
	;; [unrolled: 1-line block ×11, first 2 shown]
	s_wait_alu 0xfffe
	v_cmp_lt_u64_e64 s0, s[6:7], 56
	v_cmp_gt_u64_e64 s1, s[6:7], 7
	s_and_b32 s0, s0, exec_lo
	s_cselect_b32 s9, s7, 0
	s_cselect_b32 s8, s6, 56
	s_and_b32 vcc_lo, exec_lo, s1
	s_wait_alu 0xfffe
	s_cbranch_vccnz .LBB6_2015
; %bb.2011:                             ;   in Loop: Header=BB6_2010 Depth=1
	s_wait_loadcnt 0x0
	v_mov_b32_e32 v8, 0
	v_mov_b32_e32 v9, 0
	s_cmp_eq_u64 s[6:7], 0
	s_cbranch_scc1 .LBB6_2014
; %bb.2012:                             ;   in Loop: Header=BB6_2010 Depth=1
	s_mov_b64 s[0:1], 0
	s_mov_b64 s[10:11], 0
.LBB6_2013:                             ;   Parent Loop BB6_2010 Depth=1
                                        ; =>  This Inner Loop Header: Depth=2
	s_wait_alu 0xfffe
	s_add_nc_u64 s[12:13], s[4:5], s[10:11]
	s_add_nc_u64 s[10:11], s[10:11], 1
	global_load_u8 v2, v3, s[12:13]
	s_wait_alu 0xfffe
	s_cmp_lg_u32 s8, s10
	s_wait_loadcnt 0x0
	v_and_b32_e32 v2, 0xffff, v2
	s_delay_alu instid0(VALU_DEP_1) | instskip(SKIP_1) | instid1(VALU_DEP_1)
	v_lshlrev_b64_e32 v[10:11], s0, v[2:3]
	s_add_nc_u64 s[0:1], s[0:1], 8
	v_or_b32_e32 v8, v10, v8
	s_delay_alu instid0(VALU_DEP_2)
	v_or_b32_e32 v9, v11, v9
	s_cbranch_scc1 .LBB6_2013
.LBB6_2014:                             ;   in Loop: Header=BB6_2010 Depth=1
	s_mov_b32 s0, 0
	s_mov_b64 s[10:11], s[4:5]
	s_branch .LBB6_2016
.LBB6_2015:                             ;   in Loop: Header=BB6_2010 Depth=1
	s_add_nc_u64 s[10:11], s[4:5], 8
	s_mov_b32 s0, -1
.LBB6_2016:                             ;   in Loop: Header=BB6_2010 Depth=1
	s_wait_alu 0xfffe
	s_and_not1_b32 vcc_lo, exec_lo, s0
	s_mov_b32 s14, 0
	s_wait_alu 0xfffe
	s_cbranch_vccnz .LBB6_2018
; %bb.2017:                             ;   in Loop: Header=BB6_2010 Depth=1
	s_wait_loadcnt 0x0
	global_load_b64 v[8:9], v3, s[4:5]
	s_add_co_i32 s14, s8, -8
.LBB6_2018:                             ;   in Loop: Header=BB6_2010 Depth=1
	s_wait_alu 0xfffe
	s_cmp_gt_u32 s14, 7
	s_cbranch_scc1 .LBB6_2023
; %bb.2019:                             ;   in Loop: Header=BB6_2010 Depth=1
	v_mov_b32_e32 v10, 0
	v_mov_b32_e32 v11, 0
	s_cmp_eq_u32 s14, 0
	s_cbranch_scc1 .LBB6_2022
; %bb.2020:                             ;   in Loop: Header=BB6_2010 Depth=1
	s_mov_b64 s[0:1], 0
	s_mov_b64 s[12:13], 0
.LBB6_2021:                             ;   Parent Loop BB6_2010 Depth=1
                                        ; =>  This Inner Loop Header: Depth=2
	s_wait_alu 0xfffe
	s_add_nc_u64 s[42:43], s[10:11], s[12:13]
	s_add_nc_u64 s[12:13], s[12:13], 1
	global_load_u8 v2, v3, s[42:43]
	s_wait_alu 0xfffe
	s_cmp_lg_u32 s14, s12
	s_wait_loadcnt 0x0
	v_and_b32_e32 v2, 0xffff, v2
	s_delay_alu instid0(VALU_DEP_1) | instskip(SKIP_1) | instid1(VALU_DEP_1)
	v_lshlrev_b64_e32 v[12:13], s0, v[2:3]
	s_add_nc_u64 s[0:1], s[0:1], 8
	v_or_b32_e32 v10, v12, v10
	s_delay_alu instid0(VALU_DEP_2)
	v_or_b32_e32 v11, v13, v11
	s_cbranch_scc1 .LBB6_2021
.LBB6_2022:                             ;   in Loop: Header=BB6_2010 Depth=1
	s_mov_b32 s12, 0
	s_mov_b64 s[0:1], s[10:11]
	s_branch .LBB6_2024
.LBB6_2023:                             ;   in Loop: Header=BB6_2010 Depth=1
	s_add_nc_u64 s[0:1], s[10:11], 8
	s_mov_b32 s12, -1
                                        ; implicit-def: $vgpr10_vgpr11
.LBB6_2024:                             ;   in Loop: Header=BB6_2010 Depth=1
	s_wait_alu 0xfffe
	s_and_not1_b32 vcc_lo, exec_lo, s12
	s_mov_b32 s15, 0
	s_wait_alu 0xfffe
	s_cbranch_vccnz .LBB6_2026
; %bb.2025:                             ;   in Loop: Header=BB6_2010 Depth=1
	global_load_b64 v[10:11], v3, s[10:11]
	s_add_co_i32 s15, s14, -8
.LBB6_2026:                             ;   in Loop: Header=BB6_2010 Depth=1
	s_wait_alu 0xfffe
	s_cmp_gt_u32 s15, 7
	s_cbranch_scc1 .LBB6_2031
; %bb.2027:                             ;   in Loop: Header=BB6_2010 Depth=1
	v_mov_b32_e32 v12, 0
	v_mov_b32_e32 v13, 0
	s_cmp_eq_u32 s15, 0
	s_cbranch_scc1 .LBB6_2030
; %bb.2028:                             ;   in Loop: Header=BB6_2010 Depth=1
	s_mov_b64 s[10:11], 0
	s_mov_b64 s[12:13], 0
.LBB6_2029:                             ;   Parent Loop BB6_2010 Depth=1
                                        ; =>  This Inner Loop Header: Depth=2
	s_wait_alu 0xfffe
	s_add_nc_u64 s[42:43], s[0:1], s[12:13]
	s_add_nc_u64 s[12:13], s[12:13], 1
	global_load_u8 v2, v3, s[42:43]
	s_wait_alu 0xfffe
	s_cmp_lg_u32 s15, s12
	s_wait_loadcnt 0x0
	v_and_b32_e32 v2, 0xffff, v2
	s_delay_alu instid0(VALU_DEP_1) | instskip(SKIP_1) | instid1(VALU_DEP_1)
	v_lshlrev_b64_e32 v[14:15], s10, v[2:3]
	s_add_nc_u64 s[10:11], s[10:11], 8
	v_or_b32_e32 v12, v14, v12
	s_delay_alu instid0(VALU_DEP_2)
	v_or_b32_e32 v13, v15, v13
	s_cbranch_scc1 .LBB6_2029
.LBB6_2030:                             ;   in Loop: Header=BB6_2010 Depth=1
	s_mov_b32 s12, 0
	s_mov_b64 s[10:11], s[0:1]
	s_branch .LBB6_2032
.LBB6_2031:                             ;   in Loop: Header=BB6_2010 Depth=1
	s_add_nc_u64 s[10:11], s[0:1], 8
	s_mov_b32 s12, -1
.LBB6_2032:                             ;   in Loop: Header=BB6_2010 Depth=1
	s_wait_alu 0xfffe
	s_and_not1_b32 vcc_lo, exec_lo, s12
	s_mov_b32 s14, 0
	s_wait_alu 0xfffe
	s_cbranch_vccnz .LBB6_2034
; %bb.2033:                             ;   in Loop: Header=BB6_2010 Depth=1
	global_load_b64 v[12:13], v3, s[0:1]
	s_add_co_i32 s14, s15, -8
.LBB6_2034:                             ;   in Loop: Header=BB6_2010 Depth=1
	s_wait_alu 0xfffe
	s_cmp_gt_u32 s14, 7
	s_cbranch_scc1 .LBB6_2039
; %bb.2035:                             ;   in Loop: Header=BB6_2010 Depth=1
	v_mov_b32_e32 v14, 0
	v_mov_b32_e32 v15, 0
	s_cmp_eq_u32 s14, 0
	s_cbranch_scc1 .LBB6_2038
; %bb.2036:                             ;   in Loop: Header=BB6_2010 Depth=1
	s_mov_b64 s[0:1], 0
	s_mov_b64 s[12:13], 0
.LBB6_2037:                             ;   Parent Loop BB6_2010 Depth=1
                                        ; =>  This Inner Loop Header: Depth=2
	s_wait_alu 0xfffe
	s_add_nc_u64 s[42:43], s[10:11], s[12:13]
	s_add_nc_u64 s[12:13], s[12:13], 1
	global_load_u8 v2, v3, s[42:43]
	s_wait_alu 0xfffe
	s_cmp_lg_u32 s14, s12
	s_wait_loadcnt 0x0
	v_and_b32_e32 v2, 0xffff, v2
	s_delay_alu instid0(VALU_DEP_1) | instskip(SKIP_1) | instid1(VALU_DEP_1)
	v_lshlrev_b64_e32 v[16:17], s0, v[2:3]
	s_add_nc_u64 s[0:1], s[0:1], 8
	v_or_b32_e32 v14, v16, v14
	s_delay_alu instid0(VALU_DEP_2)
	v_or_b32_e32 v15, v17, v15
	s_cbranch_scc1 .LBB6_2037
.LBB6_2038:                             ;   in Loop: Header=BB6_2010 Depth=1
	s_mov_b32 s12, 0
	s_mov_b64 s[0:1], s[10:11]
	s_branch .LBB6_2040
.LBB6_2039:                             ;   in Loop: Header=BB6_2010 Depth=1
	s_add_nc_u64 s[0:1], s[10:11], 8
	s_mov_b32 s12, -1
                                        ; implicit-def: $vgpr14_vgpr15
.LBB6_2040:                             ;   in Loop: Header=BB6_2010 Depth=1
	s_wait_alu 0xfffe
	s_and_not1_b32 vcc_lo, exec_lo, s12
	s_mov_b32 s15, 0
	s_wait_alu 0xfffe
	s_cbranch_vccnz .LBB6_2042
; %bb.2041:                             ;   in Loop: Header=BB6_2010 Depth=1
	global_load_b64 v[14:15], v3, s[10:11]
	s_add_co_i32 s15, s14, -8
.LBB6_2042:                             ;   in Loop: Header=BB6_2010 Depth=1
	s_wait_alu 0xfffe
	s_cmp_gt_u32 s15, 7
	s_cbranch_scc1 .LBB6_2047
; %bb.2043:                             ;   in Loop: Header=BB6_2010 Depth=1
	v_mov_b32_e32 v16, 0
	v_mov_b32_e32 v17, 0
	s_cmp_eq_u32 s15, 0
	s_cbranch_scc1 .LBB6_2046
; %bb.2044:                             ;   in Loop: Header=BB6_2010 Depth=1
	s_mov_b64 s[10:11], 0
	s_mov_b64 s[12:13], 0
.LBB6_2045:                             ;   Parent Loop BB6_2010 Depth=1
                                        ; =>  This Inner Loop Header: Depth=2
	s_wait_alu 0xfffe
	s_add_nc_u64 s[42:43], s[0:1], s[12:13]
	s_add_nc_u64 s[12:13], s[12:13], 1
	global_load_u8 v2, v3, s[42:43]
	s_wait_alu 0xfffe
	s_cmp_lg_u32 s15, s12
	s_wait_loadcnt 0x0
	v_and_b32_e32 v2, 0xffff, v2
	s_delay_alu instid0(VALU_DEP_1) | instskip(SKIP_1) | instid1(VALU_DEP_1)
	v_lshlrev_b64_e32 v[18:19], s10, v[2:3]
	s_add_nc_u64 s[10:11], s[10:11], 8
	v_or_b32_e32 v16, v18, v16
	s_delay_alu instid0(VALU_DEP_2)
	v_or_b32_e32 v17, v19, v17
	s_cbranch_scc1 .LBB6_2045
.LBB6_2046:                             ;   in Loop: Header=BB6_2010 Depth=1
	s_mov_b32 s12, 0
	s_mov_b64 s[10:11], s[0:1]
	s_branch .LBB6_2048
.LBB6_2047:                             ;   in Loop: Header=BB6_2010 Depth=1
	s_add_nc_u64 s[10:11], s[0:1], 8
	s_mov_b32 s12, -1
.LBB6_2048:                             ;   in Loop: Header=BB6_2010 Depth=1
	s_wait_alu 0xfffe
	s_and_not1_b32 vcc_lo, exec_lo, s12
	s_mov_b32 s14, 0
	s_wait_alu 0xfffe
	s_cbranch_vccnz .LBB6_2050
; %bb.2049:                             ;   in Loop: Header=BB6_2010 Depth=1
	global_load_b64 v[16:17], v3, s[0:1]
	s_add_co_i32 s14, s15, -8
.LBB6_2050:                             ;   in Loop: Header=BB6_2010 Depth=1
	s_wait_alu 0xfffe
	s_cmp_gt_u32 s14, 7
	s_cbranch_scc1 .LBB6_2055
; %bb.2051:                             ;   in Loop: Header=BB6_2010 Depth=1
	v_mov_b32_e32 v18, 0
	v_mov_b32_e32 v19, 0
	s_cmp_eq_u32 s14, 0
	s_cbranch_scc1 .LBB6_2054
; %bb.2052:                             ;   in Loop: Header=BB6_2010 Depth=1
	s_mov_b64 s[0:1], 0
	s_mov_b64 s[12:13], 0
.LBB6_2053:                             ;   Parent Loop BB6_2010 Depth=1
                                        ; =>  This Inner Loop Header: Depth=2
	s_wait_alu 0xfffe
	s_add_nc_u64 s[42:43], s[10:11], s[12:13]
	s_add_nc_u64 s[12:13], s[12:13], 1
	global_load_u8 v2, v3, s[42:43]
	s_wait_alu 0xfffe
	s_cmp_lg_u32 s14, s12
	s_wait_loadcnt 0x0
	v_and_b32_e32 v2, 0xffff, v2
	s_delay_alu instid0(VALU_DEP_1) | instskip(SKIP_1) | instid1(VALU_DEP_1)
	v_lshlrev_b64_e32 v[20:21], s0, v[2:3]
	s_add_nc_u64 s[0:1], s[0:1], 8
	v_or_b32_e32 v18, v20, v18
	s_delay_alu instid0(VALU_DEP_2)
	v_or_b32_e32 v19, v21, v19
	s_cbranch_scc1 .LBB6_2053
.LBB6_2054:                             ;   in Loop: Header=BB6_2010 Depth=1
	s_mov_b32 s12, 0
	s_mov_b64 s[0:1], s[10:11]
	s_branch .LBB6_2056
.LBB6_2055:                             ;   in Loop: Header=BB6_2010 Depth=1
	s_add_nc_u64 s[0:1], s[10:11], 8
	s_mov_b32 s12, -1
                                        ; implicit-def: $vgpr18_vgpr19
.LBB6_2056:                             ;   in Loop: Header=BB6_2010 Depth=1
	s_wait_alu 0xfffe
	s_and_not1_b32 vcc_lo, exec_lo, s12
	s_mov_b32 s15, 0
	s_wait_alu 0xfffe
	s_cbranch_vccnz .LBB6_2058
; %bb.2057:                             ;   in Loop: Header=BB6_2010 Depth=1
	global_load_b64 v[18:19], v3, s[10:11]
	s_add_co_i32 s15, s14, -8
.LBB6_2058:                             ;   in Loop: Header=BB6_2010 Depth=1
	s_wait_alu 0xfffe
	s_cmp_gt_u32 s15, 7
	s_cbranch_scc1 .LBB6_2063
; %bb.2059:                             ;   in Loop: Header=BB6_2010 Depth=1
	v_mov_b32_e32 v20, 0
	v_mov_b32_e32 v21, 0
	s_cmp_eq_u32 s15, 0
	s_cbranch_scc1 .LBB6_2062
; %bb.2060:                             ;   in Loop: Header=BB6_2010 Depth=1
	s_mov_b64 s[10:11], 0
	s_mov_b64 s[12:13], s[0:1]
.LBB6_2061:                             ;   Parent Loop BB6_2010 Depth=1
                                        ; =>  This Inner Loop Header: Depth=2
	global_load_u8 v2, v3, s[12:13]
	s_add_co_i32 s15, s15, -1
	s_wait_alu 0xfffe
	s_add_nc_u64 s[12:13], s[12:13], 1
	s_cmp_lg_u32 s15, 0
	s_wait_loadcnt 0x0
	v_and_b32_e32 v2, 0xffff, v2
	s_delay_alu instid0(VALU_DEP_1) | instskip(SKIP_1) | instid1(VALU_DEP_1)
	v_lshlrev_b64_e32 v[22:23], s10, v[2:3]
	s_add_nc_u64 s[10:11], s[10:11], 8
	v_or_b32_e32 v20, v22, v20
	s_delay_alu instid0(VALU_DEP_2)
	v_or_b32_e32 v21, v23, v21
	s_cbranch_scc1 .LBB6_2061
.LBB6_2062:                             ;   in Loop: Header=BB6_2010 Depth=1
	s_mov_b32 s10, 0
	s_branch .LBB6_2064
.LBB6_2063:                             ;   in Loop: Header=BB6_2010 Depth=1
	s_mov_b32 s10, -1
.LBB6_2064:                             ;   in Loop: Header=BB6_2010 Depth=1
	s_wait_alu 0xfffe
	s_and_not1_b32 vcc_lo, exec_lo, s10
	s_wait_alu 0xfffe
	s_cbranch_vccnz .LBB6_2066
; %bb.2065:                             ;   in Loop: Header=BB6_2010 Depth=1
	global_load_b64 v[20:21], v3, s[0:1]
.LBB6_2066:                             ;   in Loop: Header=BB6_2010 Depth=1
	v_readfirstlane_b32 s0, v31
	v_mov_b32_e32 v26, 0
	v_mov_b32_e32 v27, 0
	s_wait_alu 0xf1ff
	s_delay_alu instid0(VALU_DEP_3)
	v_cmp_eq_u32_e64 s0, s0, v31
	s_and_saveexec_b32 s1, s0
	s_cbranch_execz .LBB6_2072
; %bb.2067:                             ;   in Loop: Header=BB6_2010 Depth=1
	global_load_b64 v[24:25], v3, s[2:3] offset:24 scope:SCOPE_SYS
	s_wait_loadcnt 0x0
	global_inv scope:SCOPE_SYS
	s_clause 0x1
	global_load_b64 v[22:23], v3, s[2:3] offset:40
	global_load_b64 v[26:27], v3, s[2:3]
	s_mov_b32 s10, exec_lo
	s_wait_loadcnt 0x1
	v_and_b32_e32 v2, v23, v25
	v_and_b32_e32 v22, v22, v24
	s_delay_alu instid0(VALU_DEP_2) | instskip(NEXT) | instid1(VALU_DEP_2)
	v_mul_lo_u32 v2, 24, v2
	v_mul_lo_u32 v23, 0, v22
	v_mul_hi_u32 v28, 24, v22
	v_mul_lo_u32 v22, 24, v22
	s_delay_alu instid0(VALU_DEP_3) | instskip(SKIP_1) | instid1(VALU_DEP_2)
	v_add_nc_u32_e32 v2, v2, v23
	s_wait_loadcnt 0x0
	v_add_co_u32 v22, vcc_lo, v26, v22
	s_delay_alu instid0(VALU_DEP_2) | instskip(SKIP_1) | instid1(VALU_DEP_1)
	v_add_nc_u32_e32 v2, v2, v28
	s_wait_alu 0xfffd
	v_add_co_ci_u32_e64 v23, null, v27, v2, vcc_lo
	global_load_b64 v[22:23], v[22:23], off scope:SCOPE_SYS
	s_wait_loadcnt 0x0
	global_atomic_cmpswap_b64 v[26:27], v3, v[22:25], s[2:3] offset:24 th:TH_ATOMIC_RETURN scope:SCOPE_SYS
	s_wait_loadcnt 0x0
	global_inv scope:SCOPE_SYS
	v_cmpx_ne_u64_e64 v[26:27], v[24:25]
	s_cbranch_execz .LBB6_2071
; %bb.2068:                             ;   in Loop: Header=BB6_2010 Depth=1
	s_mov_b32 s11, 0
.LBB6_2069:                             ;   Parent Loop BB6_2010 Depth=1
                                        ; =>  This Inner Loop Header: Depth=2
	s_sleep 1
	s_clause 0x1
	global_load_b64 v[22:23], v3, s[2:3] offset:40
	global_load_b64 v[28:29], v3, s[2:3]
	v_dual_mov_b32 v24, v26 :: v_dual_mov_b32 v25, v27
	s_wait_loadcnt 0x1
	s_delay_alu instid0(VALU_DEP_1) | instskip(NEXT) | instid1(VALU_DEP_2)
	v_and_b32_e32 v2, v22, v24
	v_and_b32_e32 v22, v23, v25
	s_wait_loadcnt 0x0
	s_delay_alu instid0(VALU_DEP_2) | instskip(NEXT) | instid1(VALU_DEP_1)
	v_mad_co_u64_u32 v[26:27], null, v2, 24, v[28:29]
	v_mov_b32_e32 v2, v27
	s_delay_alu instid0(VALU_DEP_1) | instskip(NEXT) | instid1(VALU_DEP_1)
	v_mad_co_u64_u32 v[22:23], null, v22, 24, v[2:3]
	v_mov_b32_e32 v27, v22
	global_load_b64 v[22:23], v[26:27], off scope:SCOPE_SYS
	s_wait_loadcnt 0x0
	global_atomic_cmpswap_b64 v[26:27], v3, v[22:25], s[2:3] offset:24 th:TH_ATOMIC_RETURN scope:SCOPE_SYS
	s_wait_loadcnt 0x0
	global_inv scope:SCOPE_SYS
	v_cmp_eq_u64_e32 vcc_lo, v[26:27], v[24:25]
	s_wait_alu 0xfffe
	s_or_b32 s11, vcc_lo, s11
	s_wait_alu 0xfffe
	s_and_not1_b32 exec_lo, exec_lo, s11
	s_cbranch_execnz .LBB6_2069
; %bb.2070:                             ;   in Loop: Header=BB6_2010 Depth=1
	s_or_b32 exec_lo, exec_lo, s11
.LBB6_2071:                             ;   in Loop: Header=BB6_2010 Depth=1
	s_wait_alu 0xfffe
	s_or_b32 exec_lo, exec_lo, s10
.LBB6_2072:                             ;   in Loop: Header=BB6_2010 Depth=1
	s_wait_alu 0xfffe
	s_or_b32 exec_lo, exec_lo, s1
	s_clause 0x1
	global_load_b64 v[28:29], v3, s[2:3] offset:40
	global_load_b128 v[22:25], v3, s[2:3]
	v_readfirstlane_b32 s11, v27
	v_readfirstlane_b32 s10, v26
	s_mov_b32 s1, exec_lo
	s_wait_loadcnt 0x1
	s_wait_alu 0xf1ff
	v_and_b32_e32 v29, s11, v29
	v_and_b32_e32 v28, s10, v28
	s_delay_alu instid0(VALU_DEP_2) | instskip(NEXT) | instid1(VALU_DEP_2)
	v_mul_lo_u32 v2, 24, v29
	v_mul_lo_u32 v26, 0, v28
	v_mul_hi_u32 v27, 24, v28
	v_mul_lo_u32 v32, 24, v28
	s_delay_alu instid0(VALU_DEP_3) | instskip(SKIP_1) | instid1(VALU_DEP_2)
	v_add_nc_u32_e32 v2, v2, v26
	s_wait_loadcnt 0x0
	v_add_co_u32 v26, vcc_lo, v22, v32
	s_delay_alu instid0(VALU_DEP_2) | instskip(SKIP_1) | instid1(VALU_DEP_1)
	v_add_nc_u32_e32 v2, v2, v27
	s_wait_alu 0xfffd
	v_add_co_ci_u32_e64 v27, null, v23, v2, vcc_lo
	s_and_saveexec_b32 s12, s0
	s_cbranch_execz .LBB6_2074
; %bb.2073:                             ;   in Loop: Header=BB6_2010 Depth=1
	s_wait_alu 0xfffe
	v_mov_b32_e32 v2, s1
	global_store_b128 v[26:27], v[2:5], off offset:8
.LBB6_2074:                             ;   in Loop: Header=BB6_2010 Depth=1
	s_wait_alu 0xfffe
	s_or_b32 exec_lo, exec_lo, s12
	v_cmp_gt_u64_e64 s1, s[6:7], 56
	v_lshlrev_b64_e32 v[28:29], 12, v[28:29]
	v_and_b32_e32 v2, 0xffffff1f, v6
	s_and_b32 s1, s1, exec_lo
	s_delay_alu instid0(VALU_DEP_2)
	v_add_co_u32 v24, vcc_lo, v24, v28
	s_cselect_b32 s1, 0, 2
	s_wait_alu 0xfffd
	v_add_co_ci_u32_e64 v25, null, v25, v29, vcc_lo
	s_wait_alu 0xfffe
	v_or_b32_e32 v2, s1, v2
	s_lshl_b32 s12, s8, 2
	s_wait_alu 0xfffe
	s_add_co_i32 s1, s12, 28
	v_readfirstlane_b32 s12, v24
	v_readfirstlane_b32 s13, v25
	s_wait_alu 0xfffe
	v_and_or_b32 v6, 0x1e0, s1, v2
	s_clause 0x3
	global_store_b128 v30, v[6:9], s[12:13]
	global_store_b128 v30, v[10:13], s[12:13] offset:16
	global_store_b128 v30, v[14:17], s[12:13] offset:32
	;; [unrolled: 1-line block ×3, first 2 shown]
	s_and_saveexec_b32 s1, s0
	s_cbranch_execz .LBB6_2082
; %bb.2075:                             ;   in Loop: Header=BB6_2010 Depth=1
	s_clause 0x1
	global_load_b64 v[14:15], v3, s[2:3] offset:32 scope:SCOPE_SYS
	global_load_b64 v[6:7], v3, s[2:3] offset:40
	v_mov_b32_e32 v12, s10
	s_mov_b32 s12, exec_lo
	s_wait_loadcnt 0x0
	v_dual_mov_b32 v13, s11 :: v_dual_and_b32 v2, s11, v7
	v_and_b32_e32 v6, s10, v6
	s_delay_alu instid0(VALU_DEP_2) | instskip(NEXT) | instid1(VALU_DEP_2)
	v_mul_lo_u32 v2, 24, v2
	v_mul_lo_u32 v7, 0, v6
	v_mul_hi_u32 v8, 24, v6
	v_mul_lo_u32 v6, 24, v6
	s_delay_alu instid0(VALU_DEP_3) | instskip(NEXT) | instid1(VALU_DEP_2)
	v_add_nc_u32_e32 v2, v2, v7
	v_add_co_u32 v10, vcc_lo, v22, v6
	s_delay_alu instid0(VALU_DEP_2) | instskip(SKIP_1) | instid1(VALU_DEP_1)
	v_add_nc_u32_e32 v2, v2, v8
	s_wait_alu 0xfffd
	v_add_co_ci_u32_e64 v11, null, v23, v2, vcc_lo
	global_store_b64 v[10:11], v[14:15], off
	global_wb scope:SCOPE_SYS
	s_wait_storecnt 0x0
	global_atomic_cmpswap_b64 v[8:9], v3, v[12:15], s[2:3] offset:32 th:TH_ATOMIC_RETURN scope:SCOPE_SYS
	s_wait_loadcnt 0x0
	v_cmpx_ne_u64_e64 v[8:9], v[14:15]
	s_cbranch_execz .LBB6_2078
; %bb.2076:                             ;   in Loop: Header=BB6_2010 Depth=1
	s_mov_b32 s13, 0
.LBB6_2077:                             ;   Parent Loop BB6_2010 Depth=1
                                        ; =>  This Inner Loop Header: Depth=2
	v_dual_mov_b32 v6, s10 :: v_dual_mov_b32 v7, s11
	s_sleep 1
	global_store_b64 v[10:11], v[8:9], off
	global_wb scope:SCOPE_SYS
	s_wait_storecnt 0x0
	global_atomic_cmpswap_b64 v[6:7], v3, v[6:9], s[2:3] offset:32 th:TH_ATOMIC_RETURN scope:SCOPE_SYS
	s_wait_loadcnt 0x0
	v_cmp_eq_u64_e32 vcc_lo, v[6:7], v[8:9]
	v_dual_mov_b32 v9, v7 :: v_dual_mov_b32 v8, v6
	s_wait_alu 0xfffe
	s_or_b32 s13, vcc_lo, s13
	s_wait_alu 0xfffe
	s_and_not1_b32 exec_lo, exec_lo, s13
	s_cbranch_execnz .LBB6_2077
.LBB6_2078:                             ;   in Loop: Header=BB6_2010 Depth=1
	s_wait_alu 0xfffe
	s_or_b32 exec_lo, exec_lo, s12
	global_load_b64 v[6:7], v3, s[2:3] offset:16
	s_mov_b32 s13, exec_lo
	s_mov_b32 s12, exec_lo
	s_wait_alu 0xfffe
	v_mbcnt_lo_u32_b32 v2, s13, 0
	s_delay_alu instid0(VALU_DEP_1)
	v_cmpx_eq_u32_e32 0, v2
	s_cbranch_execz .LBB6_2080
; %bb.2079:                             ;   in Loop: Header=BB6_2010 Depth=1
	s_bcnt1_i32_b32 s13, s13
	s_wait_alu 0xfffe
	v_mov_b32_e32 v2, s13
	global_wb scope:SCOPE_SYS
	s_wait_loadcnt 0x0
	s_wait_storecnt 0x0
	global_atomic_add_u64 v[6:7], v[2:3], off offset:8 scope:SCOPE_SYS
.LBB6_2080:                             ;   in Loop: Header=BB6_2010 Depth=1
	s_or_b32 exec_lo, exec_lo, s12
	s_wait_loadcnt 0x0
	global_load_b64 v[8:9], v[6:7], off offset:16
	s_wait_loadcnt 0x0
	v_cmp_eq_u64_e32 vcc_lo, 0, v[8:9]
	s_cbranch_vccnz .LBB6_2082
; %bb.2081:                             ;   in Loop: Header=BB6_2010 Depth=1
	global_load_b32 v2, v[6:7], off offset:24
	s_wait_loadcnt 0x0
	v_readfirstlane_b32 s12, v2
	global_wb scope:SCOPE_SYS
	s_wait_storecnt 0x0
	global_store_b64 v[8:9], v[2:3], off scope:SCOPE_SYS
	s_and_b32 m0, s12, 0xffffff
	s_sendmsg sendmsg(MSG_INTERRUPT)
.LBB6_2082:                             ;   in Loop: Header=BB6_2010 Depth=1
	s_wait_alu 0xfffe
	s_or_b32 exec_lo, exec_lo, s1
	v_add_co_u32 v6, vcc_lo, v24, v30
	s_wait_alu 0xfffd
	v_add_co_ci_u32_e64 v7, null, 0, v25, vcc_lo
	s_branch .LBB6_2086
.LBB6_2083:                             ;   in Loop: Header=BB6_2086 Depth=2
	s_wait_alu 0xfffe
	s_or_b32 exec_lo, exec_lo, s1
	s_delay_alu instid0(VALU_DEP_1)
	v_readfirstlane_b32 s1, v2
	s_cmp_eq_u32 s1, 0
	s_cbranch_scc1 .LBB6_2085
; %bb.2084:                             ;   in Loop: Header=BB6_2086 Depth=2
	s_sleep 1
	s_cbranch_execnz .LBB6_2086
	s_branch .LBB6_2088
.LBB6_2085:                             ;   in Loop: Header=BB6_2010 Depth=1
	s_branch .LBB6_2088
.LBB6_2086:                             ;   Parent Loop BB6_2010 Depth=1
                                        ; =>  This Inner Loop Header: Depth=2
	v_mov_b32_e32 v2, 1
	s_and_saveexec_b32 s1, s0
	s_cbranch_execz .LBB6_2083
; %bb.2087:                             ;   in Loop: Header=BB6_2086 Depth=2
	global_load_b32 v2, v[26:27], off offset:20 scope:SCOPE_SYS
	s_wait_loadcnt 0x0
	global_inv scope:SCOPE_SYS
	v_and_b32_e32 v2, 1, v2
	s_branch .LBB6_2083
.LBB6_2088:                             ;   in Loop: Header=BB6_2010 Depth=1
	global_load_b128 v[6:9], v[6:7], off
	s_and_saveexec_b32 s12, s0
	s_cbranch_execz .LBB6_2009
; %bb.2089:                             ;   in Loop: Header=BB6_2010 Depth=1
	s_wait_loadcnt 0x0
	s_clause 0x2
	global_load_b64 v[8:9], v3, s[2:3] offset:40
	global_load_b64 v[16:17], v3, s[2:3] offset:24 scope:SCOPE_SYS
	global_load_b64 v[10:11], v3, s[2:3]
	s_wait_loadcnt 0x2
	v_readfirstlane_b32 s14, v8
	v_readfirstlane_b32 s15, v9
	s_add_nc_u64 s[0:1], s[14:15], 1
	s_wait_alu 0xfffe
	s_add_nc_u64 s[10:11], s[0:1], s[10:11]
	s_wait_alu 0xfffe
	s_cmp_eq_u64 s[10:11], 0
	s_cselect_b32 s1, s1, s11
	s_cselect_b32 s0, s0, s10
	s_wait_alu 0xfffe
	v_dual_mov_b32 v15, s1 :: v_dual_mov_b32 v14, s0
	s_and_b64 s[10:11], s[0:1], s[14:15]
	s_wait_alu 0xfffe
	s_mul_u64 s[10:11], s[10:11], 24
	s_wait_loadcnt 0x0
	s_wait_alu 0xfffe
	v_add_co_u32 v12, vcc_lo, v10, s10
	s_wait_alu 0xfffd
	v_add_co_ci_u32_e64 v13, null, s11, v11, vcc_lo
	global_store_b64 v[12:13], v[16:17], off
	global_wb scope:SCOPE_SYS
	s_wait_storecnt 0x0
	global_atomic_cmpswap_b64 v[10:11], v3, v[14:17], s[2:3] offset:24 th:TH_ATOMIC_RETURN scope:SCOPE_SYS
	s_wait_loadcnt 0x0
	v_cmp_ne_u64_e32 vcc_lo, v[10:11], v[16:17]
	s_and_b32 exec_lo, exec_lo, vcc_lo
	s_cbranch_execz .LBB6_2009
; %bb.2090:                             ;   in Loop: Header=BB6_2010 Depth=1
	s_mov_b32 s10, 0
.LBB6_2091:                             ;   Parent Loop BB6_2010 Depth=1
                                        ; =>  This Inner Loop Header: Depth=2
	v_dual_mov_b32 v8, s0 :: v_dual_mov_b32 v9, s1
	s_sleep 1
	global_store_b64 v[12:13], v[10:11], off
	global_wb scope:SCOPE_SYS
	s_wait_storecnt 0x0
	global_atomic_cmpswap_b64 v[8:9], v3, v[8:11], s[2:3] offset:24 th:TH_ATOMIC_RETURN scope:SCOPE_SYS
	s_wait_loadcnt 0x0
	v_cmp_eq_u64_e32 vcc_lo, v[8:9], v[10:11]
	v_dual_mov_b32 v11, v9 :: v_dual_mov_b32 v10, v8
	s_wait_alu 0xfffe
	s_or_b32 s10, vcc_lo, s10
	s_wait_alu 0xfffe
	s_and_not1_b32 exec_lo, exec_lo, s10
	s_cbranch_execnz .LBB6_2091
	s_branch .LBB6_2009
.LBB6_2092:
	s_mov_b32 s0, 0
	s_branch .LBB6_2094
.LBB6_2093:
	s_mov_b32 s0, -1
.LBB6_2094:
	s_wait_alu 0xfffe
	s_and_b32 vcc_lo, exec_lo, s0
	s_wait_alu 0xfffe
	s_cbranch_vccz .LBB6_2122
; %bb.2095:
	v_readfirstlane_b32 s0, v31
	s_wait_loadcnt 0x0
	v_mov_b32_e32 v8, 0
	v_mov_b32_e32 v9, 0
	s_wait_alu 0xf1ff
	v_cmp_eq_u32_e64 s0, s0, v31
	s_and_saveexec_b32 s1, s0
	s_cbranch_execz .LBB6_2101
; %bb.2096:
	v_mov_b32_e32 v2, 0
	s_mov_b32 s4, exec_lo
	global_load_b64 v[5:6], v2, s[2:3] offset:24 scope:SCOPE_SYS
	s_wait_loadcnt 0x0
	global_inv scope:SCOPE_SYS
	s_clause 0x1
	global_load_b64 v[3:4], v2, s[2:3] offset:40
	global_load_b64 v[7:8], v2, s[2:3]
	s_wait_loadcnt 0x1
	v_and_b32_e32 v4, v4, v6
	v_and_b32_e32 v3, v3, v5
	s_delay_alu instid0(VALU_DEP_2) | instskip(NEXT) | instid1(VALU_DEP_2)
	v_mul_lo_u32 v4, 24, v4
	v_mul_lo_u32 v9, 0, v3
	v_mul_hi_u32 v10, 24, v3
	v_mul_lo_u32 v3, 24, v3
	s_delay_alu instid0(VALU_DEP_3) | instskip(SKIP_1) | instid1(VALU_DEP_2)
	v_add_nc_u32_e32 v4, v4, v9
	s_wait_loadcnt 0x0
	v_add_co_u32 v3, vcc_lo, v7, v3
	s_delay_alu instid0(VALU_DEP_2) | instskip(SKIP_1) | instid1(VALU_DEP_1)
	v_add_nc_u32_e32 v4, v4, v10
	s_wait_alu 0xfffd
	v_add_co_ci_u32_e64 v4, null, v8, v4, vcc_lo
	global_load_b64 v[3:4], v[3:4], off scope:SCOPE_SYS
	s_wait_loadcnt 0x0
	global_atomic_cmpswap_b64 v[8:9], v2, v[3:6], s[2:3] offset:24 th:TH_ATOMIC_RETURN scope:SCOPE_SYS
	s_wait_loadcnt 0x0
	global_inv scope:SCOPE_SYS
	v_cmpx_ne_u64_e64 v[8:9], v[5:6]
	s_cbranch_execz .LBB6_2100
; %bb.2097:
	s_mov_b32 s5, 0
.LBB6_2098:                             ; =>This Inner Loop Header: Depth=1
	s_sleep 1
	s_clause 0x1
	global_load_b64 v[3:4], v2, s[2:3] offset:40
	global_load_b64 v[10:11], v2, s[2:3]
	v_dual_mov_b32 v5, v8 :: v_dual_mov_b32 v6, v9
	s_wait_loadcnt 0x1
	s_delay_alu instid0(VALU_DEP_1) | instskip(NEXT) | instid1(VALU_DEP_2)
	v_and_b32_e32 v3, v3, v5
	v_and_b32_e32 v4, v4, v6
	s_wait_loadcnt 0x0
	s_delay_alu instid0(VALU_DEP_2) | instskip(NEXT) | instid1(VALU_DEP_1)
	v_mad_co_u64_u32 v[7:8], null, v3, 24, v[10:11]
	v_mov_b32_e32 v3, v8
	s_delay_alu instid0(VALU_DEP_1) | instskip(NEXT) | instid1(VALU_DEP_1)
	v_mad_co_u64_u32 v[3:4], null, v4, 24, v[3:4]
	v_mov_b32_e32 v8, v3
	global_load_b64 v[3:4], v[7:8], off scope:SCOPE_SYS
	s_wait_loadcnt 0x0
	global_atomic_cmpswap_b64 v[8:9], v2, v[3:6], s[2:3] offset:24 th:TH_ATOMIC_RETURN scope:SCOPE_SYS
	s_wait_loadcnt 0x0
	global_inv scope:SCOPE_SYS
	v_cmp_eq_u64_e32 vcc_lo, v[8:9], v[5:6]
	s_wait_alu 0xfffe
	s_or_b32 s5, vcc_lo, s5
	s_wait_alu 0xfffe
	s_and_not1_b32 exec_lo, exec_lo, s5
	s_cbranch_execnz .LBB6_2098
; %bb.2099:
	s_or_b32 exec_lo, exec_lo, s5
.LBB6_2100:
	s_wait_alu 0xfffe
	s_or_b32 exec_lo, exec_lo, s4
.LBB6_2101:
	s_wait_alu 0xfffe
	s_or_b32 exec_lo, exec_lo, s1
	v_readfirstlane_b32 s5, v9
	v_mov_b32_e32 v2, 0
	v_readfirstlane_b32 s4, v8
	s_mov_b32 s1, exec_lo
	s_clause 0x1
	global_load_b64 v[10:11], v2, s[2:3] offset:40
	global_load_b128 v[4:7], v2, s[2:3]
	s_wait_loadcnt 0x1
	s_wait_alu 0xf1ff
	v_and_b32_e32 v11, s5, v11
	v_and_b32_e32 v10, s4, v10
	s_delay_alu instid0(VALU_DEP_2) | instskip(NEXT) | instid1(VALU_DEP_2)
	v_mul_lo_u32 v3, 24, v11
	v_mul_lo_u32 v8, 0, v10
	v_mul_hi_u32 v9, 24, v10
	v_mul_lo_u32 v12, 24, v10
	s_delay_alu instid0(VALU_DEP_3) | instskip(SKIP_1) | instid1(VALU_DEP_2)
	v_add_nc_u32_e32 v3, v3, v8
	s_wait_loadcnt 0x0
	v_add_co_u32 v8, vcc_lo, v4, v12
	s_delay_alu instid0(VALU_DEP_2) | instskip(SKIP_1) | instid1(VALU_DEP_1)
	v_add_nc_u32_e32 v3, v3, v9
	s_wait_alu 0xfffd
	v_add_co_ci_u32_e64 v9, null, v5, v3, vcc_lo
	s_and_saveexec_b32 s6, s0
	s_cbranch_execz .LBB6_2103
; %bb.2102:
	s_wait_alu 0xfffe
	v_dual_mov_b32 v12, s1 :: v_dual_mov_b32 v13, v2
	v_dual_mov_b32 v14, 2 :: v_dual_mov_b32 v15, 1
	global_store_b128 v[8:9], v[12:15], off offset:8
.LBB6_2103:
	s_wait_alu 0xfffe
	s_or_b32 exec_lo, exec_lo, s6
	v_lshlrev_b64_e32 v[10:11], 12, v[10:11]
	s_mov_b32 s8, 0
	v_and_or_b32 v0, 0xffffff1d, v0, 34
	s_wait_alu 0xfffe
	s_mov_b32 s11, s8
	s_mov_b32 s9, s8
	;; [unrolled: 1-line block ×3, first 2 shown]
	v_add_co_u32 v6, vcc_lo, v6, v10
	s_wait_alu 0xfffd
	v_add_co_ci_u32_e64 v7, null, v7, v11, vcc_lo
	v_mov_b32_e32 v3, v2
	s_delay_alu instid0(VALU_DEP_3)
	v_readfirstlane_b32 s6, v6
	s_wait_alu 0xfffe
	v_dual_mov_b32 v13, s11 :: v_dual_mov_b32 v10, s8
	v_readfirstlane_b32 s7, v7
	v_dual_mov_b32 v12, s10 :: v_dual_mov_b32 v11, s9
	s_clause 0x3
	global_store_b128 v30, v[0:3], s[6:7]
	global_store_b128 v30, v[10:13], s[6:7] offset:16
	global_store_b128 v30, v[10:13], s[6:7] offset:32
	;; [unrolled: 1-line block ×3, first 2 shown]
	s_and_saveexec_b32 s1, s0
	s_cbranch_execz .LBB6_2111
; %bb.2104:
	v_mov_b32_e32 v6, 0
	s_mov_b32 s6, exec_lo
	s_clause 0x1
	global_load_b64 v[12:13], v6, s[2:3] offset:32 scope:SCOPE_SYS
	global_load_b64 v[0:1], v6, s[2:3] offset:40
	v_dual_mov_b32 v11, s5 :: v_dual_mov_b32 v10, s4
	s_wait_loadcnt 0x0
	v_and_b32_e32 v1, s5, v1
	v_and_b32_e32 v0, s4, v0
	s_delay_alu instid0(VALU_DEP_2) | instskip(NEXT) | instid1(VALU_DEP_2)
	v_mul_lo_u32 v1, 24, v1
	v_mul_lo_u32 v2, 0, v0
	v_mul_hi_u32 v3, 24, v0
	v_mul_lo_u32 v0, 24, v0
	s_delay_alu instid0(VALU_DEP_3) | instskip(NEXT) | instid1(VALU_DEP_2)
	v_add_nc_u32_e32 v1, v1, v2
	v_add_co_u32 v4, vcc_lo, v4, v0
	s_delay_alu instid0(VALU_DEP_2) | instskip(SKIP_1) | instid1(VALU_DEP_1)
	v_add_nc_u32_e32 v1, v1, v3
	s_wait_alu 0xfffd
	v_add_co_ci_u32_e64 v5, null, v5, v1, vcc_lo
	global_store_b64 v[4:5], v[12:13], off
	global_wb scope:SCOPE_SYS
	s_wait_storecnt 0x0
	global_atomic_cmpswap_b64 v[2:3], v6, v[10:13], s[2:3] offset:32 th:TH_ATOMIC_RETURN scope:SCOPE_SYS
	s_wait_loadcnt 0x0
	v_cmpx_ne_u64_e64 v[2:3], v[12:13]
	s_cbranch_execz .LBB6_2107
; %bb.2105:
	s_mov_b32 s7, 0
.LBB6_2106:                             ; =>This Inner Loop Header: Depth=1
	v_dual_mov_b32 v0, s4 :: v_dual_mov_b32 v1, s5
	s_sleep 1
	global_store_b64 v[4:5], v[2:3], off
	global_wb scope:SCOPE_SYS
	s_wait_storecnt 0x0
	global_atomic_cmpswap_b64 v[0:1], v6, v[0:3], s[2:3] offset:32 th:TH_ATOMIC_RETURN scope:SCOPE_SYS
	s_wait_loadcnt 0x0
	v_cmp_eq_u64_e32 vcc_lo, v[0:1], v[2:3]
	v_dual_mov_b32 v3, v1 :: v_dual_mov_b32 v2, v0
	s_wait_alu 0xfffe
	s_or_b32 s7, vcc_lo, s7
	s_wait_alu 0xfffe
	s_and_not1_b32 exec_lo, exec_lo, s7
	s_cbranch_execnz .LBB6_2106
.LBB6_2107:
	s_wait_alu 0xfffe
	s_or_b32 exec_lo, exec_lo, s6
	v_mov_b32_e32 v3, 0
	s_mov_b32 s7, exec_lo
	s_mov_b32 s6, exec_lo
	s_wait_alu 0xfffe
	v_mbcnt_lo_u32_b32 v2, s7, 0
	global_load_b64 v[0:1], v3, s[2:3] offset:16
	v_cmpx_eq_u32_e32 0, v2
	s_cbranch_execz .LBB6_2109
; %bb.2108:
	s_bcnt1_i32_b32 s7, s7
	s_wait_alu 0xfffe
	v_mov_b32_e32 v2, s7
	global_wb scope:SCOPE_SYS
	s_wait_loadcnt 0x0
	s_wait_storecnt 0x0
	global_atomic_add_u64 v[0:1], v[2:3], off offset:8 scope:SCOPE_SYS
.LBB6_2109:
	s_or_b32 exec_lo, exec_lo, s6
	s_wait_loadcnt 0x0
	global_load_b64 v[2:3], v[0:1], off offset:16
	s_wait_loadcnt 0x0
	v_cmp_eq_u64_e32 vcc_lo, 0, v[2:3]
	s_cbranch_vccnz .LBB6_2111
; %bb.2110:
	global_load_b32 v0, v[0:1], off offset:24
	v_mov_b32_e32 v1, 0
	s_wait_loadcnt 0x0
	v_readfirstlane_b32 s6, v0
	global_wb scope:SCOPE_SYS
	s_wait_storecnt 0x0
	global_store_b64 v[2:3], v[0:1], off scope:SCOPE_SYS
	s_and_b32 m0, s6, 0xffffff
	s_sendmsg sendmsg(MSG_INTERRUPT)
.LBB6_2111:
	s_wait_alu 0xfffe
	s_or_b32 exec_lo, exec_lo, s1
	s_branch .LBB6_2115
.LBB6_2112:                             ;   in Loop: Header=BB6_2115 Depth=1
	s_wait_alu 0xfffe
	s_or_b32 exec_lo, exec_lo, s1
	s_delay_alu instid0(VALU_DEP_1)
	v_readfirstlane_b32 s1, v0
	s_cmp_eq_u32 s1, 0
	s_cbranch_scc1 .LBB6_2114
; %bb.2113:                             ;   in Loop: Header=BB6_2115 Depth=1
	s_sleep 1
	s_cbranch_execnz .LBB6_2115
	s_branch .LBB6_2117
.LBB6_2114:
	s_branch .LBB6_2117
.LBB6_2115:                             ; =>This Inner Loop Header: Depth=1
	v_mov_b32_e32 v0, 1
	s_and_saveexec_b32 s1, s0
	s_cbranch_execz .LBB6_2112
; %bb.2116:                             ;   in Loop: Header=BB6_2115 Depth=1
	global_load_b32 v0, v[8:9], off offset:20 scope:SCOPE_SYS
	s_wait_loadcnt 0x0
	global_inv scope:SCOPE_SYS
	v_and_b32_e32 v0, 1, v0
	s_branch .LBB6_2112
.LBB6_2117:
	s_and_saveexec_b32 s6, s0
	s_cbranch_execz .LBB6_2121
; %bb.2118:
	v_mov_b32_e32 v6, 0
	s_clause 0x2
	global_load_b64 v[0:1], v6, s[2:3] offset:40
	global_load_b64 v[9:10], v6, s[2:3] offset:24 scope:SCOPE_SYS
	global_load_b64 v[2:3], v6, s[2:3]
	s_wait_loadcnt 0x2
	v_readfirstlane_b32 s8, v0
	v_readfirstlane_b32 s9, v1
	s_add_nc_u64 s[0:1], s[8:9], 1
	s_wait_alu 0xfffe
	s_add_nc_u64 s[4:5], s[0:1], s[4:5]
	s_wait_alu 0xfffe
	s_cmp_eq_u64 s[4:5], 0
	s_cselect_b32 s1, s1, s5
	s_cselect_b32 s0, s0, s4
	s_wait_alu 0xfffe
	v_mov_b32_e32 v8, s1
	s_and_b64 s[4:5], s[0:1], s[8:9]
	v_mov_b32_e32 v7, s0
	s_wait_alu 0xfffe
	s_mul_u64 s[4:5], s[4:5], 24
	s_wait_loadcnt 0x0
	s_wait_alu 0xfffe
	v_add_co_u32 v4, vcc_lo, v2, s4
	s_wait_alu 0xfffd
	v_add_co_ci_u32_e64 v5, null, s5, v3, vcc_lo
	global_store_b64 v[4:5], v[9:10], off
	global_wb scope:SCOPE_SYS
	s_wait_storecnt 0x0
	global_atomic_cmpswap_b64 v[2:3], v6, v[7:10], s[2:3] offset:24 th:TH_ATOMIC_RETURN scope:SCOPE_SYS
	s_wait_loadcnt 0x0
	v_cmp_ne_u64_e32 vcc_lo, v[2:3], v[9:10]
	s_and_b32 exec_lo, exec_lo, vcc_lo
	s_cbranch_execz .LBB6_2121
; %bb.2119:
	s_mov_b32 s4, 0
.LBB6_2120:                             ; =>This Inner Loop Header: Depth=1
	v_dual_mov_b32 v0, s0 :: v_dual_mov_b32 v1, s1
	s_sleep 1
	global_store_b64 v[4:5], v[2:3], off
	global_wb scope:SCOPE_SYS
	s_wait_storecnt 0x0
	global_atomic_cmpswap_b64 v[0:1], v6, v[0:3], s[2:3] offset:24 th:TH_ATOMIC_RETURN scope:SCOPE_SYS
	s_wait_loadcnt 0x0
	v_cmp_eq_u64_e32 vcc_lo, v[0:1], v[2:3]
	v_dual_mov_b32 v3, v1 :: v_dual_mov_b32 v2, v0
	s_wait_alu 0xfffe
	s_or_b32 s4, vcc_lo, s4
	s_wait_alu 0xfffe
	s_and_not1_b32 exec_lo, exec_lo, s4
	s_cbranch_execnz .LBB6_2120
.LBB6_2121:
	s_wait_alu 0xfffe
	s_or_b32 exec_lo, exec_lo, s6
.LBB6_2122:
	s_getpc_b64 s[0:1]
	s_wait_alu 0xfffe
	s_sext_i32_i16 s1, s1
	s_add_co_u32 s0, s0, .str.29@rel32@lo+12
	s_wait_alu 0xfffe
	s_add_co_ci_u32 s1, s1, .str.29@rel32@hi+24
	s_getpc_b64 s[2:3]
	s_wait_alu 0xfffe
	s_sext_i32_i16 s3, s3
	s_add_co_u32 s2, s2, .str.19@rel32@lo+12
	s_wait_alu 0xfffe
	s_add_co_ci_u32 s3, s3, .str.19@rel32@hi+24
	s_getpc_b64 s[4:5]
	s_wait_alu 0xfffe
	s_sext_i32_i16 s5, s5
	s_add_co_u32 s4, s4, __PRETTY_FUNCTION__._ZN7VecsMemIjLi8192EE5fetchEi@rel32@lo+12
	s_wait_alu 0xfffe
	s_add_co_ci_u32 s5, s5, __PRETTY_FUNCTION__._ZN7VecsMemIjLi8192EE5fetchEi@rel32@hi+24
	s_wait_loadcnt 0x0
	v_dual_mov_b32 v0, s0 :: v_dual_mov_b32 v1, s1
	v_dual_mov_b32 v2, s2 :: v_dual_mov_b32 v3, s3
	;; [unrolled: 1-line block ×3, first 2 shown]
	s_wait_alu 0xfffe
	v_mov_b32_e32 v6, s5
	s_getpc_b64 s[6:7]
	s_wait_alu 0xfffe
	s_sext_i32_i16 s7, s7
	s_add_co_u32 s6, s6, __assert_fail@rel32@lo+12
	s_wait_alu 0xfffe
	s_add_co_ci_u32 s7, s7, __assert_fail@rel32@hi+24
	s_mov_b64 s[8:9], s[52:53]
	s_wait_alu 0xfffe
	s_swappc_b64 s[30:31], s[6:7]
	s_or_b32 s0, s67, exec_lo
.LBB6_2123:
	s_or_b32 exec_lo, exec_lo, s29
	s_delay_alu instid0(SALU_CYCLE_1)
	s_and_not1_b32 s1, s67, exec_lo
	s_wait_alu 0xfffe
	s_and_b32 s0, s0, exec_lo
	s_or_not1_b32 s2, s17, exec_lo
	s_wait_alu 0xfffe
	s_or_b32 s69, s1, s0
.LBB6_2124:
	s_wait_alu 0xfffe
	s_or_b32 exec_lo, exec_lo, s28
	s_mov_b32 s0, 0
	s_mov_b32 s1, s24
                                        ; implicit-def: $vgpr41
	s_and_saveexec_b32 s70, s2
	s_cbranch_execz .LBB6_2342
; %bb.2125:
	s_mov_b32 s2, 0
	s_mov_b32 s0, -1
	s_mov_b32 s1, exec_lo
	scratch_store_b64 off, v[80:81], s33 offset:96
	v_cmpx_lt_i32_e32 0, v70
	s_cbranch_execz .LBB6_2133
; %bb.2126:
	v_not_b32_e32 v4, v82
	v_dual_mov_b32 v0, 0 :: v_dual_mov_b32 v5, 0
	s_mov_b32 s3, 0
	s_branch .LBB6_2128
.LBB6_2127:                             ;   in Loop: Header=BB6_2128 Depth=1
	s_or_b32 exec_lo, exec_lo, s0
	v_ashrrev_i32_e32 v1, 31, v0
	s_add_co_i32 s3, s3, 1
	v_add_co_u32 v64, s0, v64, 4
	s_wait_alu 0xf1ff
	v_add_co_ci_u32_e64 v65, null, 0, v65, s0
	v_lshlrev_b64_e32 v[0:1], 2, v[0:1]
	s_delay_alu instid0(VALU_DEP_1) | instskip(SKIP_1) | instid1(VALU_DEP_2)
	v_add_co_u32 v0, vcc_lo, v2, v0
	s_wait_alu 0xfffd
	v_add_co_ci_u32_e64 v1, null, v3, v1, vcc_lo
	flat_store_b32 v[0:1], v7
	flat_load_b32 v0, v[54:55] offset:4
	s_wait_loadcnt_dscnt 0x0
	s_wait_alu 0xfffe
	v_cmp_ge_i32_e32 vcc_lo, s3, v0
	v_mov_b32_e32 v0, v6
	s_or_b32 s2, vcc_lo, s2
	s_wait_alu 0xfffe
	s_and_not1_b32 exec_lo, exec_lo, s2
	s_cbranch_execz .LBB6_2132
.LBB6_2128:                             ; =>This Inner Loop Header: Depth=1
	flat_load_b32 v7, v[64:65]
	s_mov_b32 s0, exec_lo
                                        ; implicit-def: $vgpr6
	s_wait_loadcnt_dscnt 0x0
	v_and_b32_e32 v1, v7, v82
	s_delay_alu instid0(VALU_DEP_1)
	v_cmpx_ne_u32_e32 0, v1
	s_wait_alu 0xfffe
	s_xor_b32 s0, exec_lo, s0
	s_cbranch_execz .LBB6_2130
; %bb.2129:                             ;   in Loop: Header=BB6_2128 Depth=1
	v_add_nc_u32_e32 v6, 1, v0
	v_and_b32_e32 v7, v7, v4
	scratch_store_b32 off, v6, s33 offset:76
.LBB6_2130:                             ;   in Loop: Header=BB6_2128 Depth=1
	s_wait_alu 0xfffe
	s_or_saveexec_b32 s0, s0
	v_mov_b32_e32 v2, v68
	v_dual_mov_b32 v8, v5 :: v_dual_mov_b32 v3, v69
	s_wait_alu 0xfffe
	s_xor_b32 exec_lo, exec_lo, s0
	s_cbranch_execz .LBB6_2127
; %bb.2131:                             ;   in Loop: Header=BB6_2128 Depth=1
	v_add_nc_u32_e32 v8, 1, v5
	v_dual_mov_b32 v2, v80 :: v_dual_mov_b32 v3, v81
	v_mov_b32_e32 v6, v0
	s_delay_alu instid0(VALU_DEP_3)
	v_dual_mov_b32 v0, v5 :: v_dual_mov_b32 v5, v8
	scratch_store_b32 off, v8, s33 offset:92
	s_branch .LBB6_2127
.LBB6_2132:
	s_or_b32 exec_lo, exec_lo, s2
	v_cmp_eq_u32_e32 vcc_lo, 0, v8
	s_or_not1_b32 s0, vcc_lo, exec_lo
.LBB6_2133:
	v_writelane_b32 v59, s40, 0
	v_writelane_b32 v59, s24, 1
	;; [unrolled: 1-line block ×11, first 2 shown]
	s_wait_alu 0xfffe
	s_or_b32 exec_lo, exec_lo, s1
	flat_load_b32 v0, v[66:67] offset:4
	v_dual_mov_b32 v1, 0 :: v_dual_mov_b32 v2, v47
	v_dual_mov_b32 v3, v42 :: v_dual_mov_b32 v4, v43
	s_xor_b32 s71, s0, -1
	s_getpc_b64 s[0:1]
	s_wait_alu 0xfffe
	s_sext_i32_i16 s1, s1
	s_add_co_u32 s0, s0, _ZN3sop23sopFactorTrivialCubeRecEjiiPN8subgUtil4SubgILi256EEE@rel32@lo+12
	s_wait_alu 0xfffe
	s_add_co_ci_u32 s1, s1, _ZN3sop23sopFactorTrivialCubeRecEjiiPN8subgUtil4SubgILi256EEE@rel32@hi+24
	s_mov_b64 s[8:9], s[52:53]
	s_mov_b64 s[80:81], src_private_base
	s_wait_alu 0xfffe
	s_swappc_b64 s[30:31], s[0:1]
	s_getpc_b64 s[0:1]
	s_wait_alu 0xfffe
	s_sext_i32_i16 s1, s1
	s_add_co_u32 s0, s0, _ZN3sop12sopFactorRecEPNS_3SopEiP7VecsMemIjLi8192EEPN8subgUtil4SubgILi256EEE@rel32@lo+12
	s_wait_alu 0xfffe
	s_add_co_ci_u32 s1, s1, _ZN3sop12sopFactorRecEPNS_3SopEiP7VecsMemIjLi8192EEPN8subgUtil4SubgILi256EEE@rel32@hi+24
	s_add_co_i32 s2, s33, 0x48
	v_dual_mov_b32 v40, v0 :: v_dual_mov_b32 v1, s81
	s_wait_alu 0xfffe
	v_dual_mov_b32 v0, s2 :: v_dual_mov_b32 v3, v44
	v_dual_mov_b32 v2, v47 :: v_dual_mov_b32 v5, v42
	v_mov_b32_e32 v4, v45
	v_mov_b32_e32 v6, v43
	s_mov_b64 s[8:9], s[52:53]
	s_wait_alu 0xfffe
	s_swappc_b64 s[30:31], s[0:1]
	flat_load_b32 v1, v[42:43]
	s_mov_b32 s34, s69
	s_mov_b32 s0, exec_lo
	s_wait_loadcnt_dscnt 0x0
	v_cmpx_lt_i32_e32 0xff, v1
	s_wait_alu 0xfffe
	s_xor_b32 s17, exec_lo, s0
	s_cbranch_execz .LBB6_2135
; %bb.2134:
	s_getpc_b64 s[0:1]
	s_wait_alu 0xfffe
	s_sext_i32_i16 s1, s1
	s_add_co_u32 s0, s0, .str.43@rel32@lo+12
	s_wait_alu 0xfffe
	s_add_co_ci_u32 s1, s1, .str.43@rel32@hi+24
	s_getpc_b64 s[2:3]
	s_wait_alu 0xfffe
	s_sext_i32_i16 s3, s3
	s_add_co_u32 s2, s2, .str.44@rel32@lo+12
	s_wait_alu 0xfffe
	s_add_co_ci_u32 s3, s3, .str.44@rel32@hi+24
	s_getpc_b64 s[4:5]
	s_wait_alu 0xfffe
	s_sext_i32_i16 s5, s5
	s_add_co_u32 s4, s4, __PRETTY_FUNCTION__._ZN8subgUtil4SubgILi256EE10addNodeAndEii@rel32@lo+12
	s_wait_alu 0xfffe
	s_add_co_ci_u32 s5, s5, __PRETTY_FUNCTION__._ZN8subgUtil4SubgILi256EE10addNodeAndEii@rel32@hi+24
	v_dual_mov_b32 v0, s0 :: v_dual_mov_b32 v1, s1
	v_dual_mov_b32 v2, s2 :: v_dual_mov_b32 v3, s3
	;; [unrolled: 1-line block ×3, first 2 shown]
	s_wait_alu 0xfffe
	v_mov_b32_e32 v6, s5
	s_getpc_b64 s[6:7]
	s_wait_alu 0xfffe
	s_sext_i32_i16 s7, s7
	s_add_co_u32 s6, s6, __assert_fail@rel32@lo+12
	s_wait_alu 0xfffe
	s_add_co_ci_u32 s7, s7, __assert_fail@rel32@hi+24
	s_mov_b64 s[8:9], s[52:53]
	s_wait_alu 0xfffe
	s_swappc_b64 s[30:31], s[6:7]
	s_or_b32 s34, s69, exec_lo
                                        ; implicit-def: $vgpr1
                                        ; implicit-def: $vgpr40
                                        ; implicit-def: $vgpr0
                                        ; implicit-def: $vgpr42_vgpr43
                                        ; implicit-def: $vgpr44
                                        ; implicit-def: $vgpr47
.LBB6_2135:
	s_wait_alu 0xfffe
	s_or_saveexec_b32 s35, s17
	v_readlane_b32 s24, v59, 1
	v_readlane_b32 s20, v59, 10
	;; [unrolled: 1-line block ×11, first 2 shown]
	s_mov_b32 s0, 0
	s_mov_b32 s1, s24
                                        ; implicit-def: $vgpr41
	s_wait_alu 0xfffe
	s_xor_b32 exec_lo, exec_lo, s35
	s_cbranch_execz .LBB6_2341
; %bb.2136:
	v_or_b32_e32 v2, v0, v40
	s_mov_b32 s0, -1
	s_mov_b32 s1, s24
	s_mov_b32 s2, s34
	s_mov_b32 s37, exec_lo
                                        ; implicit-def: $vgpr41
	v_cmpx_lt_i32_e32 -1, v2
	s_cbranch_execz .LBB6_2340
; %bb.2137:
	v_ashrrev_i32_e32 v2, 31, v1
	v_max_i32_e32 v4, v40, v0
	v_min_i32_e32 v5, v40, v0
	v_add_nc_u32_e32 v0, 1, v1
	v_lshlrev_b32_e32 v41, 1, v1
	v_lshlrev_b64_e32 v[2:3], 3, v[1:2]
	v_lshlrev_b32_e32 v4, 1, v4
	s_mov_b32 s1, -1
	s_mov_b32 s0, s34
	s_delay_alu instid0(VALU_DEP_2)
	v_add_co_u32 v2, vcc_lo, v42, v2
	s_wait_alu 0xfffd
	v_add_co_ci_u32_e64 v3, null, v43, v3, vcc_lo
	s_clause 0x1
	flat_store_b32 v[42:43], v0
	flat_store_b64 v[2:3], v[4:5] offset:8
	s_and_saveexec_b32 s36, s71
	s_cbranch_execz .LBB6_2337
; %bb.2138:
	s_mov_b64 s[0:1], src_private_base
	s_getpc_b64 s[2:3]
	s_wait_alu 0xfffe
	s_sext_i32_i16 s3, s3
	s_add_co_u32 s2, s2, _ZN3sop12sopFactorRecEPNS_3SopEiP7VecsMemIjLi8192EEPN8subgUtil4SubgILi256EEE@rel32@lo+12
	s_wait_alu 0xfffe
	s_add_co_ci_u32 s3, s3, _ZN3sop12sopFactorRecEPNS_3SopEiP7VecsMemIjLi8192EEPN8subgUtil4SubgILi256EEE@rel32@hi+24
	s_add_co_i32 s0, s33, 0x58
	s_wait_alu 0xfffe
	v_dual_mov_b32 v1, s1 :: v_dual_mov_b32 v0, s0
	v_dual_mov_b32 v2, v47 :: v_dual_mov_b32 v3, v44
	;; [unrolled: 1-line block ×3, first 2 shown]
	v_mov_b32_e32 v6, v43
	s_mov_b64 s[8:9], s[52:53]
	s_wait_alu 0xfffe
	s_swappc_b64 s[30:31], s[2:3]
	flat_load_b32 v1, v[42:43]
	s_mov_b32 s17, s34
	s_mov_b32 s0, exec_lo
	s_wait_loadcnt_dscnt 0x0
	v_cmpx_lt_i32_e32 0xff, v1
	s_wait_alu 0xfffe
	s_xor_b32 s18, exec_lo, s0
	s_cbranch_execz .LBB6_2140
; %bb.2139:
	s_getpc_b64 s[0:1]
	s_wait_alu 0xfffe
	s_sext_i32_i16 s1, s1
	s_add_co_u32 s0, s0, .str.43@rel32@lo+12
	s_wait_alu 0xfffe
	s_add_co_ci_u32 s1, s1, .str.43@rel32@hi+24
	s_getpc_b64 s[2:3]
	s_wait_alu 0xfffe
	s_sext_i32_i16 s3, s3
	s_add_co_u32 s2, s2, .str.44@rel32@lo+12
	s_wait_alu 0xfffe
	s_add_co_ci_u32 s3, s3, .str.44@rel32@hi+24
	s_getpc_b64 s[4:5]
	s_wait_alu 0xfffe
	s_sext_i32_i16 s5, s5
	s_add_co_u32 s4, s4, __PRETTY_FUNCTION__._ZN8subgUtil4SubgILi256EE9addNodeOrEii@rel32@lo+12
	s_wait_alu 0xfffe
	s_add_co_ci_u32 s5, s5, __PRETTY_FUNCTION__._ZN8subgUtil4SubgILi256EE9addNodeOrEii@rel32@hi+24
	v_dual_mov_b32 v0, s0 :: v_dual_mov_b32 v1, s1
	v_dual_mov_b32 v2, s2 :: v_dual_mov_b32 v3, s3
	;; [unrolled: 1-line block ×3, first 2 shown]
	s_wait_alu 0xfffe
	v_mov_b32_e32 v6, s5
	s_getpc_b64 s[6:7]
	s_wait_alu 0xfffe
	s_sext_i32_i16 s7, s7
	s_add_co_u32 s6, s6, __assert_fail@rel32@lo+12
	s_wait_alu 0xfffe
	s_add_co_ci_u32 s7, s7, __assert_fail@rel32@hi+24
	s_mov_b64 s[8:9], s[52:53]
	s_wait_alu 0xfffe
	s_swappc_b64 s[30:31], s[6:7]
	s_or_b32 s17, s34, exec_lo
                                        ; implicit-def: $vgpr0
                                        ; implicit-def: $vgpr41
                                        ; implicit-def: $vgpr42_vgpr43
.LBB6_2140:
	s_wait_alu 0xfffe
	s_or_saveexec_b32 s18, s18
	s_mov_b32 s1, 0
	s_wait_alu 0xfffe
	s_xor_b32 exec_lo, exec_lo, s18
	s_cbranch_execz .LBB6_2336
; %bb.2141:
	v_min_i32_e32 v36, v41, v0
	v_max_i32_e32 v3, v41, v0
	s_delay_alu instid0(VALU_DEP_2) | instskip(NEXT) | instid1(VALU_DEP_2)
	v_xor_b32_e32 v30, 1, v36
	v_xor_b32_e32 v33, 1, v3
	s_delay_alu instid0(VALU_DEP_1)
	v_cmp_gt_i32_e64 s0, v30, v33
	s_and_saveexec_b32 s16, s0
	s_cbranch_execz .LBB6_2331
; %bb.2142:
	s_load_b64 s[2:3], s[52:53], 0x50
	v_mbcnt_lo_u32_b32 v35, -1, 0
	v_mov_b32_e32 v1, 0
	v_mov_b32_e32 v2, 0
	s_delay_alu instid0(VALU_DEP_3) | instskip(SKIP_1) | instid1(VALU_DEP_1)
	v_readfirstlane_b32 s1, v35
	s_wait_alu 0xf1ff
	v_cmp_eq_u32_e64 s1, s1, v35
	s_and_saveexec_b32 s4, s1
	s_cbranch_execz .LBB6_2148
; %bb.2143:
	v_mov_b32_e32 v4, 0
	s_mov_b32 s5, exec_lo
	s_wait_kmcnt 0x0
	global_load_b64 v[7:8], v4, s[2:3] offset:24 scope:SCOPE_SYS
	s_wait_loadcnt 0x0
	global_inv scope:SCOPE_SYS
	s_clause 0x1
	global_load_b64 v[1:2], v4, s[2:3] offset:40
	global_load_b64 v[5:6], v4, s[2:3]
	s_wait_loadcnt 0x1
	v_and_b32_e32 v2, v2, v8
	v_and_b32_e32 v1, v1, v7
	s_delay_alu instid0(VALU_DEP_2) | instskip(NEXT) | instid1(VALU_DEP_2)
	v_mul_lo_u32 v2, 24, v2
	v_mul_lo_u32 v9, 0, v1
	v_mul_hi_u32 v10, 24, v1
	v_mul_lo_u32 v1, 24, v1
	s_delay_alu instid0(VALU_DEP_3) | instskip(SKIP_1) | instid1(VALU_DEP_2)
	v_add_nc_u32_e32 v2, v2, v9
	s_wait_loadcnt 0x0
	v_add_co_u32 v1, vcc_lo, v5, v1
	s_delay_alu instid0(VALU_DEP_2) | instskip(SKIP_1) | instid1(VALU_DEP_1)
	v_add_nc_u32_e32 v2, v2, v10
	s_wait_alu 0xfffd
	v_add_co_ci_u32_e64 v2, null, v6, v2, vcc_lo
	global_load_b64 v[5:6], v[1:2], off scope:SCOPE_SYS
	s_wait_loadcnt 0x0
	global_atomic_cmpswap_b64 v[1:2], v4, v[5:8], s[2:3] offset:24 th:TH_ATOMIC_RETURN scope:SCOPE_SYS
	s_wait_loadcnt 0x0
	global_inv scope:SCOPE_SYS
	v_cmpx_ne_u64_e64 v[1:2], v[7:8]
	s_cbranch_execz .LBB6_2147
; %bb.2144:
	s_mov_b32 s6, 0
.LBB6_2145:                             ; =>This Inner Loop Header: Depth=1
	s_sleep 1
	s_clause 0x1
	global_load_b64 v[5:6], v4, s[2:3] offset:40
	global_load_b64 v[9:10], v4, s[2:3]
	v_dual_mov_b32 v8, v2 :: v_dual_mov_b32 v7, v1
	s_wait_loadcnt 0x1
	s_delay_alu instid0(VALU_DEP_1) | instskip(NEXT) | instid1(VALU_DEP_2)
	v_and_b32_e32 v1, v5, v7
	v_and_b32_e32 v5, v6, v8
	s_wait_loadcnt 0x0
	s_delay_alu instid0(VALU_DEP_2) | instskip(NEXT) | instid1(VALU_DEP_1)
	v_mad_co_u64_u32 v[1:2], null, v1, 24, v[9:10]
	v_mad_co_u64_u32 v[5:6], null, v5, 24, v[2:3]
	s_delay_alu instid0(VALU_DEP_1)
	v_mov_b32_e32 v2, v5
	global_load_b64 v[5:6], v[1:2], off scope:SCOPE_SYS
	s_wait_loadcnt 0x0
	global_atomic_cmpswap_b64 v[1:2], v4, v[5:8], s[2:3] offset:24 th:TH_ATOMIC_RETURN scope:SCOPE_SYS
	s_wait_loadcnt 0x0
	global_inv scope:SCOPE_SYS
	v_cmp_eq_u64_e32 vcc_lo, v[1:2], v[7:8]
	s_wait_alu 0xfffe
	s_or_b32 s6, vcc_lo, s6
	s_wait_alu 0xfffe
	s_and_not1_b32 exec_lo, exec_lo, s6
	s_cbranch_execnz .LBB6_2145
; %bb.2146:
	s_or_b32 exec_lo, exec_lo, s6
.LBB6_2147:
	s_wait_alu 0xfffe
	s_or_b32 exec_lo, exec_lo, s5
.LBB6_2148:
	s_wait_alu 0xfffe
	s_or_b32 exec_lo, exec_lo, s4
	v_readfirstlane_b32 s4, v1
	v_mov_b32_e32 v9, 0
	v_readfirstlane_b32 s5, v2
	s_mov_b32 s6, exec_lo
	s_wait_kmcnt 0x0
	s_clause 0x1
	global_load_b64 v[10:11], v9, s[2:3] offset:40
	global_load_b128 v[4:7], v9, s[2:3]
	s_wait_loadcnt 0x1
	s_wait_alu 0xf1ff
	v_and_b32_e32 v13, s5, v11
	v_and_b32_e32 v12, s4, v10
	s_delay_alu instid0(VALU_DEP_2) | instskip(NEXT) | instid1(VALU_DEP_2)
	v_mul_lo_u32 v1, 24, v13
	v_mul_lo_u32 v2, 0, v12
	v_mul_hi_u32 v8, 24, v12
	v_mul_lo_u32 v10, 24, v12
	s_delay_alu instid0(VALU_DEP_3) | instskip(NEXT) | instid1(VALU_DEP_1)
	v_add_nc_u32_e32 v1, v1, v2
	v_add_nc_u32_e32 v2, v1, v8
	s_wait_loadcnt 0x0
	s_delay_alu instid0(VALU_DEP_3) | instskip(SKIP_1) | instid1(VALU_DEP_2)
	v_add_co_u32 v1, vcc_lo, v4, v10
	s_wait_alu 0xfffd
	v_add_co_ci_u32_e64 v2, null, v5, v2, vcc_lo
	s_and_saveexec_b32 s7, s1
	s_cbranch_execz .LBB6_2150
; %bb.2149:
	s_wait_alu 0xfffe
	v_dual_mov_b32 v8, s6 :: v_dual_mov_b32 v11, 1
	v_mov_b32_e32 v10, 2
	global_store_b128 v[1:2], v[8:11], off offset:8
.LBB6_2150:
	s_wait_alu 0xfffe
	s_or_b32 exec_lo, exec_lo, s7
	v_lshlrev_b64_e32 v[11:12], 12, v[12:13]
	v_lshlrev_b32_e32 v34, 6, v35
	s_mov_b32 s8, 0
	s_wait_alu 0xfffe
	s_mov_b32 s11, s8
	s_mov_b32 s9, s8
	v_add_co_u32 v6, vcc_lo, v6, v11
	s_wait_alu 0xfffd
	v_add_co_ci_u32_e64 v7, null, v7, v12, vcc_lo
	v_mov_b32_e32 v11, v9
	s_delay_alu instid0(VALU_DEP_3)
	v_add_co_u32 v12, vcc_lo, v6, v34
	s_mov_b32 s10, s8
	s_wait_alu 0xfffe
	v_dual_mov_b32 v8, 33 :: v_dual_mov_b32 v17, s11
	v_dual_mov_b32 v10, v9 :: v_dual_mov_b32 v15, s9
	v_readfirstlane_b32 s6, v6
	v_readfirstlane_b32 s7, v7
	s_wait_alu 0xfffd
	v_add_co_ci_u32_e64 v13, null, 0, v7, vcc_lo
	v_mov_b32_e32 v16, s10
	v_mov_b32_e32 v14, s8
	s_clause 0x3
	global_store_b128 v34, v[8:11], s[6:7]
	global_store_b128 v34, v[14:17], s[6:7] offset:16
	global_store_b128 v34, v[14:17], s[6:7] offset:32
	;; [unrolled: 1-line block ×3, first 2 shown]
	s_and_saveexec_b32 s6, s1
	s_cbranch_execz .LBB6_2157
; %bb.2151:
	v_mov_b32_e32 v10, 0
	s_mov_b32 s7, exec_lo
	s_clause 0x1
	global_load_b64 v[16:17], v10, s[2:3] offset:32 scope:SCOPE_SYS
	global_load_b64 v[6:7], v10, s[2:3] offset:40
	v_dual_mov_b32 v15, s5 :: v_dual_mov_b32 v14, s4
	s_wait_loadcnt 0x0
	v_and_b32_e32 v7, s5, v7
	v_and_b32_e32 v6, s4, v6
	s_delay_alu instid0(VALU_DEP_2) | instskip(NEXT) | instid1(VALU_DEP_2)
	v_mul_lo_u32 v7, 24, v7
	v_mul_lo_u32 v8, 0, v6
	v_mul_hi_u32 v9, 24, v6
	v_mul_lo_u32 v6, 24, v6
	s_delay_alu instid0(VALU_DEP_3) | instskip(NEXT) | instid1(VALU_DEP_2)
	v_add_nc_u32_e32 v7, v7, v8
	v_add_co_u32 v8, vcc_lo, v4, v6
	s_delay_alu instid0(VALU_DEP_2) | instskip(SKIP_1) | instid1(VALU_DEP_1)
	v_add_nc_u32_e32 v7, v7, v9
	s_wait_alu 0xfffd
	v_add_co_ci_u32_e64 v9, null, v5, v7, vcc_lo
	global_store_b64 v[8:9], v[16:17], off
	global_wb scope:SCOPE_SYS
	s_wait_storecnt 0x0
	global_atomic_cmpswap_b64 v[6:7], v10, v[14:17], s[2:3] offset:32 th:TH_ATOMIC_RETURN scope:SCOPE_SYS
	s_wait_loadcnt 0x0
	v_cmpx_ne_u64_e64 v[6:7], v[16:17]
	s_cbranch_execz .LBB6_2153
.LBB6_2152:                             ; =>This Inner Loop Header: Depth=1
	v_dual_mov_b32 v4, s4 :: v_dual_mov_b32 v5, s5
	s_sleep 1
	global_store_b64 v[8:9], v[6:7], off
	global_wb scope:SCOPE_SYS
	s_wait_storecnt 0x0
	global_atomic_cmpswap_b64 v[4:5], v10, v[4:7], s[2:3] offset:32 th:TH_ATOMIC_RETURN scope:SCOPE_SYS
	s_wait_loadcnt 0x0
	v_cmp_eq_u64_e32 vcc_lo, v[4:5], v[6:7]
	v_dual_mov_b32 v7, v5 :: v_dual_mov_b32 v6, v4
	s_or_b32 s8, vcc_lo, s8
	s_wait_alu 0xfffe
	s_and_not1_b32 exec_lo, exec_lo, s8
	s_cbranch_execnz .LBB6_2152
.LBB6_2153:
	s_wait_alu 0xfffe
	s_or_b32 exec_lo, exec_lo, s7
	v_mov_b32_e32 v7, 0
	s_mov_b32 s8, exec_lo
	s_mov_b32 s7, exec_lo
	s_wait_alu 0xfffe
	v_mbcnt_lo_u32_b32 v6, s8, 0
	global_load_b64 v[4:5], v7, s[2:3] offset:16
	v_cmpx_eq_u32_e32 0, v6
	s_cbranch_execz .LBB6_2155
; %bb.2154:
	s_bcnt1_i32_b32 s8, s8
	s_wait_alu 0xfffe
	v_mov_b32_e32 v6, s8
	global_wb scope:SCOPE_SYS
	s_wait_loadcnt 0x0
	s_wait_storecnt 0x0
	global_atomic_add_u64 v[4:5], v[6:7], off offset:8 scope:SCOPE_SYS
.LBB6_2155:
	s_or_b32 exec_lo, exec_lo, s7
	s_wait_loadcnt 0x0
	global_load_b64 v[6:7], v[4:5], off offset:16
	s_wait_loadcnt 0x0
	v_cmp_eq_u64_e32 vcc_lo, 0, v[6:7]
	s_cbranch_vccnz .LBB6_2157
; %bb.2156:
	global_load_b32 v4, v[4:5], off offset:24
	v_mov_b32_e32 v5, 0
	s_wait_loadcnt 0x0
	v_readfirstlane_b32 s7, v4
	global_wb scope:SCOPE_SYS
	s_wait_storecnt 0x0
	global_store_b64 v[6:7], v[4:5], off scope:SCOPE_SYS
	s_and_b32 m0, s7, 0xffffff
	s_sendmsg sendmsg(MSG_INTERRUPT)
.LBB6_2157:
	s_wait_alu 0xfffe
	s_or_b32 exec_lo, exec_lo, s6
	s_branch .LBB6_2161
.LBB6_2158:                             ;   in Loop: Header=BB6_2161 Depth=1
	s_wait_alu 0xfffe
	s_or_b32 exec_lo, exec_lo, s6
	s_delay_alu instid0(VALU_DEP_1)
	v_readfirstlane_b32 s6, v4
	s_cmp_eq_u32 s6, 0
	s_cbranch_scc1 .LBB6_2160
; %bb.2159:                             ;   in Loop: Header=BB6_2161 Depth=1
	s_sleep 1
	s_cbranch_execnz .LBB6_2161
	s_branch .LBB6_2163
.LBB6_2160:
	s_branch .LBB6_2163
.LBB6_2161:                             ; =>This Inner Loop Header: Depth=1
	v_mov_b32_e32 v4, 1
	s_and_saveexec_b32 s6, s1
	s_cbranch_execz .LBB6_2158
; %bb.2162:                             ;   in Loop: Header=BB6_2161 Depth=1
	global_load_b32 v4, v[1:2], off offset:20 scope:SCOPE_SYS
	s_wait_loadcnt 0x0
	global_inv scope:SCOPE_SYS
	v_and_b32_e32 v4, 1, v4
	s_branch .LBB6_2158
.LBB6_2163:
	global_load_b64 v[4:5], v[12:13], off
	s_and_saveexec_b32 s6, s1
	s_cbranch_execz .LBB6_2167
; %bb.2164:
	v_mov_b32_e32 v10, 0
	s_clause 0x2
	global_load_b64 v[1:2], v10, s[2:3] offset:40
	global_load_b64 v[13:14], v10, s[2:3] offset:24 scope:SCOPE_SYS
	global_load_b64 v[6:7], v10, s[2:3]
	s_wait_loadcnt 0x2
	v_readfirstlane_b32 s8, v1
	v_readfirstlane_b32 s9, v2
	s_add_nc_u64 s[10:11], s[8:9], 1
	s_wait_alu 0xfffe
	s_add_nc_u64 s[4:5], s[10:11], s[4:5]
	s_wait_alu 0xfffe
	s_cmp_eq_u64 s[4:5], 0
	s_cselect_b32 s5, s11, s5
	s_cselect_b32 s4, s10, s4
	s_wait_alu 0xfffe
	v_mov_b32_e32 v12, s5
	s_and_b64 s[8:9], s[4:5], s[8:9]
	v_mov_b32_e32 v11, s4
	s_wait_alu 0xfffe
	s_mul_u64 s[8:9], s[8:9], 24
	s_wait_loadcnt 0x0
	s_wait_alu 0xfffe
	v_add_co_u32 v1, vcc_lo, v6, s8
	s_wait_alu 0xfffd
	v_add_co_ci_u32_e64 v2, null, s9, v7, vcc_lo
	global_store_b64 v[1:2], v[13:14], off
	global_wb scope:SCOPE_SYS
	s_wait_storecnt 0x0
	global_atomic_cmpswap_b64 v[8:9], v10, v[11:14], s[2:3] offset:24 th:TH_ATOMIC_RETURN scope:SCOPE_SYS
	s_wait_loadcnt 0x0
	v_cmp_ne_u64_e32 vcc_lo, v[8:9], v[13:14]
	s_and_b32 exec_lo, exec_lo, vcc_lo
	s_cbranch_execz .LBB6_2167
; %bb.2165:
	s_mov_b32 s1, 0
.LBB6_2166:                             ; =>This Inner Loop Header: Depth=1
	v_dual_mov_b32 v6, s4 :: v_dual_mov_b32 v7, s5
	s_sleep 1
	global_store_b64 v[1:2], v[8:9], off
	global_wb scope:SCOPE_SYS
	s_wait_storecnt 0x0
	global_atomic_cmpswap_b64 v[6:7], v10, v[6:9], s[2:3] offset:24 th:TH_ATOMIC_RETURN scope:SCOPE_SYS
	s_wait_loadcnt 0x0
	v_cmp_eq_u64_e32 vcc_lo, v[6:7], v[8:9]
	v_dual_mov_b32 v9, v7 :: v_dual_mov_b32 v8, v6
	s_wait_alu 0xfffe
	s_or_b32 s1, vcc_lo, s1
	s_wait_alu 0xfffe
	s_and_not1_b32 exec_lo, exec_lo, s1
	s_cbranch_execnz .LBB6_2166
.LBB6_2167:
	s_wait_alu 0xfffe
	s_or_b32 exec_lo, exec_lo, s6
	s_getpc_b64 s[4:5]
	s_wait_alu 0xfffe
	s_sext_i32_i16 s5, s5
	s_add_co_u32 s4, s4, .str.45@rel32@lo+12
	s_wait_alu 0xfffe
	s_add_co_ci_u32 s5, s5, .str.45@rel32@hi+24
	s_wait_alu 0xfffe
	s_cmp_lg_u64 s[4:5], 0
	s_cbranch_scc0 .LBB6_2253
; %bb.2168:
	s_wait_loadcnt 0x0
	v_dual_mov_b32 v12, 2 :: v_dual_and_b32 v37, 2, v4
	v_dual_mov_b32 v11, 0 :: v_dual_and_b32 v6, -3, v4
	v_mov_b32_e32 v7, v5
	v_mov_b32_e32 v13, 1
	s_mov_b64 s[6:7], 7
	s_branch .LBB6_2170
.LBB6_2169:                             ;   in Loop: Header=BB6_2170 Depth=1
	s_wait_alu 0xfffe
	s_or_b32 exec_lo, exec_lo, s12
	s_sub_nc_u64 s[6:7], s[6:7], s[8:9]
	s_add_nc_u64 s[4:5], s[4:5], s[8:9]
	s_wait_alu 0xfffe
	s_cmp_lg_u64 s[6:7], 0
	s_cbranch_scc0 .LBB6_2252
.LBB6_2170:                             ; =>This Loop Header: Depth=1
                                        ;     Child Loop BB6_2173 Depth 2
                                        ;     Child Loop BB6_2181 Depth 2
	;; [unrolled: 1-line block ×11, first 2 shown]
	s_wait_alu 0xfffe
	v_cmp_lt_u64_e64 s1, s[6:7], 56
	v_cmp_gt_u64_e64 s10, s[6:7], 7
	s_and_b32 s1, s1, exec_lo
	s_cselect_b32 s9, s7, 0
	s_cselect_b32 s8, s6, 56
	s_and_b32 vcc_lo, exec_lo, s10
	s_wait_alu 0xfffe
	s_cbranch_vccnz .LBB6_2175
; %bb.2171:                             ;   in Loop: Header=BB6_2170 Depth=1
	v_mov_b32_e32 v8, 0
	v_mov_b32_e32 v9, 0
	s_cmp_eq_u64 s[6:7], 0
	s_cbranch_scc1 .LBB6_2174
; %bb.2172:                             ;   in Loop: Header=BB6_2170 Depth=1
	s_mov_b64 s[10:11], 0
	s_mov_b64 s[12:13], 0
.LBB6_2173:                             ;   Parent Loop BB6_2170 Depth=1
                                        ; =>  This Inner Loop Header: Depth=2
	s_wait_alu 0xfffe
	s_add_nc_u64 s[14:15], s[4:5], s[12:13]
	s_add_nc_u64 s[12:13], s[12:13], 1
	global_load_u8 v1, v11, s[14:15]
	s_wait_alu 0xfffe
	s_cmp_lg_u32 s8, s12
	s_wait_loadcnt 0x0
	v_and_b32_e32 v10, 0xffff, v1
	s_delay_alu instid0(VALU_DEP_1) | instskip(SKIP_1) | instid1(VALU_DEP_1)
	v_lshlrev_b64_e32 v[1:2], s10, v[10:11]
	s_add_nc_u64 s[10:11], s[10:11], 8
	v_or_b32_e32 v8, v1, v8
	s_delay_alu instid0(VALU_DEP_2)
	v_or_b32_e32 v9, v2, v9
	s_cbranch_scc1 .LBB6_2173
.LBB6_2174:                             ;   in Loop: Header=BB6_2170 Depth=1
	s_mov_b32 s1, 0
	s_mov_b64 s[12:13], s[4:5]
	s_branch .LBB6_2176
.LBB6_2175:                             ;   in Loop: Header=BB6_2170 Depth=1
	s_add_nc_u64 s[12:13], s[4:5], 8
	s_mov_b32 s1, -1
.LBB6_2176:                             ;   in Loop: Header=BB6_2170 Depth=1
	s_wait_alu 0xfffe
	s_and_not1_b32 vcc_lo, exec_lo, s1
	s_mov_b32 s1, 0
	s_wait_alu 0xfffe
	s_cbranch_vccnz .LBB6_2178
; %bb.2177:                             ;   in Loop: Header=BB6_2170 Depth=1
	global_load_b64 v[8:9], v11, s[4:5]
	s_add_co_i32 s1, s8, -8
.LBB6_2178:                             ;   in Loop: Header=BB6_2170 Depth=1
	s_wait_alu 0xfffe
	s_cmp_gt_u32 s1, 7
	s_cbranch_scc1 .LBB6_2183
; %bb.2179:                             ;   in Loop: Header=BB6_2170 Depth=1
	v_mov_b32_e32 v14, 0
	v_mov_b32_e32 v15, 0
	s_cmp_eq_u32 s1, 0
	s_cbranch_scc1 .LBB6_2182
; %bb.2180:                             ;   in Loop: Header=BB6_2170 Depth=1
	s_mov_b64 s[10:11], 0
	s_mov_b64 s[14:15], 0
.LBB6_2181:                             ;   Parent Loop BB6_2170 Depth=1
                                        ; =>  This Inner Loop Header: Depth=2
	s_wait_alu 0xfffe
	s_add_nc_u64 s[20:21], s[12:13], s[14:15]
	s_add_nc_u64 s[14:15], s[14:15], 1
	global_load_u8 v1, v11, s[20:21]
	s_wait_alu 0xfffe
	s_cmp_lg_u32 s1, s14
	s_wait_loadcnt 0x0
	v_and_b32_e32 v10, 0xffff, v1
	s_delay_alu instid0(VALU_DEP_1) | instskip(SKIP_1) | instid1(VALU_DEP_1)
	v_lshlrev_b64_e32 v[1:2], s10, v[10:11]
	s_add_nc_u64 s[10:11], s[10:11], 8
	v_or_b32_e32 v14, v1, v14
	s_delay_alu instid0(VALU_DEP_2)
	v_or_b32_e32 v15, v2, v15
	s_cbranch_scc1 .LBB6_2181
.LBB6_2182:                             ;   in Loop: Header=BB6_2170 Depth=1
	s_mov_b32 s14, 0
	s_mov_b64 s[10:11], s[12:13]
	s_branch .LBB6_2184
.LBB6_2183:                             ;   in Loop: Header=BB6_2170 Depth=1
	s_add_nc_u64 s[10:11], s[12:13], 8
	s_mov_b32 s14, -1
                                        ; implicit-def: $vgpr14_vgpr15
.LBB6_2184:                             ;   in Loop: Header=BB6_2170 Depth=1
	s_wait_alu 0xfffe
	s_and_not1_b32 vcc_lo, exec_lo, s14
	s_mov_b32 s19, 0
	s_wait_alu 0xfffe
	s_cbranch_vccnz .LBB6_2186
; %bb.2185:                             ;   in Loop: Header=BB6_2170 Depth=1
	global_load_b64 v[14:15], v11, s[12:13]
	s_add_co_i32 s19, s1, -8
.LBB6_2186:                             ;   in Loop: Header=BB6_2170 Depth=1
	s_wait_alu 0xfffe
	s_cmp_gt_u32 s19, 7
	s_cbranch_scc1 .LBB6_2191
; %bb.2187:                             ;   in Loop: Header=BB6_2170 Depth=1
	v_mov_b32_e32 v16, 0
	v_mov_b32_e32 v17, 0
	s_cmp_eq_u32 s19, 0
	s_cbranch_scc1 .LBB6_2190
; %bb.2188:                             ;   in Loop: Header=BB6_2170 Depth=1
	s_mov_b64 s[12:13], 0
	s_mov_b64 s[14:15], 0
.LBB6_2189:                             ;   Parent Loop BB6_2170 Depth=1
                                        ; =>  This Inner Loop Header: Depth=2
	s_wait_alu 0xfffe
	s_add_nc_u64 s[20:21], s[10:11], s[14:15]
	s_add_nc_u64 s[14:15], s[14:15], 1
	global_load_u8 v1, v11, s[20:21]
	s_wait_alu 0xfffe
	s_cmp_lg_u32 s19, s14
	s_wait_loadcnt 0x0
	v_and_b32_e32 v10, 0xffff, v1
	s_delay_alu instid0(VALU_DEP_1) | instskip(SKIP_1) | instid1(VALU_DEP_1)
	v_lshlrev_b64_e32 v[1:2], s12, v[10:11]
	s_add_nc_u64 s[12:13], s[12:13], 8
	v_or_b32_e32 v16, v1, v16
	s_delay_alu instid0(VALU_DEP_2)
	v_or_b32_e32 v17, v2, v17
	s_cbranch_scc1 .LBB6_2189
.LBB6_2190:                             ;   in Loop: Header=BB6_2170 Depth=1
	s_mov_b32 s1, 0
	s_mov_b64 s[12:13], s[10:11]
	s_branch .LBB6_2192
.LBB6_2191:                             ;   in Loop: Header=BB6_2170 Depth=1
	s_add_nc_u64 s[12:13], s[10:11], 8
	s_mov_b32 s1, -1
.LBB6_2192:                             ;   in Loop: Header=BB6_2170 Depth=1
	s_wait_alu 0xfffe
	s_and_not1_b32 vcc_lo, exec_lo, s1
	s_mov_b32 s1, 0
	s_wait_alu 0xfffe
	s_cbranch_vccnz .LBB6_2194
; %bb.2193:                             ;   in Loop: Header=BB6_2170 Depth=1
	global_load_b64 v[16:17], v11, s[10:11]
	s_add_co_i32 s1, s19, -8
.LBB6_2194:                             ;   in Loop: Header=BB6_2170 Depth=1
	s_wait_alu 0xfffe
	s_cmp_gt_u32 s1, 7
	s_cbranch_scc1 .LBB6_2199
; %bb.2195:                             ;   in Loop: Header=BB6_2170 Depth=1
	v_mov_b32_e32 v18, 0
	v_mov_b32_e32 v19, 0
	s_cmp_eq_u32 s1, 0
	s_cbranch_scc1 .LBB6_2198
; %bb.2196:                             ;   in Loop: Header=BB6_2170 Depth=1
	s_mov_b64 s[10:11], 0
	s_mov_b64 s[14:15], 0
.LBB6_2197:                             ;   Parent Loop BB6_2170 Depth=1
                                        ; =>  This Inner Loop Header: Depth=2
	s_wait_alu 0xfffe
	s_add_nc_u64 s[20:21], s[12:13], s[14:15]
	s_add_nc_u64 s[14:15], s[14:15], 1
	global_load_u8 v1, v11, s[20:21]
	s_wait_alu 0xfffe
	s_cmp_lg_u32 s1, s14
	s_wait_loadcnt 0x0
	v_and_b32_e32 v10, 0xffff, v1
	s_delay_alu instid0(VALU_DEP_1) | instskip(SKIP_1) | instid1(VALU_DEP_1)
	v_lshlrev_b64_e32 v[1:2], s10, v[10:11]
	s_add_nc_u64 s[10:11], s[10:11], 8
	v_or_b32_e32 v18, v1, v18
	s_delay_alu instid0(VALU_DEP_2)
	v_or_b32_e32 v19, v2, v19
	s_cbranch_scc1 .LBB6_2197
.LBB6_2198:                             ;   in Loop: Header=BB6_2170 Depth=1
	s_mov_b32 s14, 0
	s_mov_b64 s[10:11], s[12:13]
	s_branch .LBB6_2200
.LBB6_2199:                             ;   in Loop: Header=BB6_2170 Depth=1
	s_add_nc_u64 s[10:11], s[12:13], 8
	s_mov_b32 s14, -1
                                        ; implicit-def: $vgpr18_vgpr19
.LBB6_2200:                             ;   in Loop: Header=BB6_2170 Depth=1
	s_wait_alu 0xfffe
	s_and_not1_b32 vcc_lo, exec_lo, s14
	s_mov_b32 s19, 0
	s_wait_alu 0xfffe
	s_cbranch_vccnz .LBB6_2202
; %bb.2201:                             ;   in Loop: Header=BB6_2170 Depth=1
	global_load_b64 v[18:19], v11, s[12:13]
	s_add_co_i32 s19, s1, -8
.LBB6_2202:                             ;   in Loop: Header=BB6_2170 Depth=1
	s_wait_alu 0xfffe
	s_cmp_gt_u32 s19, 7
	s_cbranch_scc1 .LBB6_2207
; %bb.2203:                             ;   in Loop: Header=BB6_2170 Depth=1
	v_mov_b32_e32 v20, 0
	v_mov_b32_e32 v21, 0
	s_cmp_eq_u32 s19, 0
	s_cbranch_scc1 .LBB6_2206
; %bb.2204:                             ;   in Loop: Header=BB6_2170 Depth=1
	s_mov_b64 s[12:13], 0
	s_mov_b64 s[14:15], 0
.LBB6_2205:                             ;   Parent Loop BB6_2170 Depth=1
                                        ; =>  This Inner Loop Header: Depth=2
	s_wait_alu 0xfffe
	s_add_nc_u64 s[20:21], s[10:11], s[14:15]
	s_add_nc_u64 s[14:15], s[14:15], 1
	global_load_u8 v1, v11, s[20:21]
	s_wait_alu 0xfffe
	s_cmp_lg_u32 s19, s14
	s_wait_loadcnt 0x0
	v_and_b32_e32 v10, 0xffff, v1
	s_delay_alu instid0(VALU_DEP_1) | instskip(SKIP_1) | instid1(VALU_DEP_1)
	v_lshlrev_b64_e32 v[1:2], s12, v[10:11]
	s_add_nc_u64 s[12:13], s[12:13], 8
	v_or_b32_e32 v20, v1, v20
	s_delay_alu instid0(VALU_DEP_2)
	v_or_b32_e32 v21, v2, v21
	s_cbranch_scc1 .LBB6_2205
.LBB6_2206:                             ;   in Loop: Header=BB6_2170 Depth=1
	s_mov_b32 s1, 0
	s_mov_b64 s[12:13], s[10:11]
	s_branch .LBB6_2208
.LBB6_2207:                             ;   in Loop: Header=BB6_2170 Depth=1
	s_add_nc_u64 s[12:13], s[10:11], 8
	s_mov_b32 s1, -1
.LBB6_2208:                             ;   in Loop: Header=BB6_2170 Depth=1
	s_wait_alu 0xfffe
	s_and_not1_b32 vcc_lo, exec_lo, s1
	s_mov_b32 s1, 0
	s_wait_alu 0xfffe
	s_cbranch_vccnz .LBB6_2210
; %bb.2209:                             ;   in Loop: Header=BB6_2170 Depth=1
	global_load_b64 v[20:21], v11, s[10:11]
	s_add_co_i32 s1, s19, -8
.LBB6_2210:                             ;   in Loop: Header=BB6_2170 Depth=1
	s_wait_alu 0xfffe
	s_cmp_gt_u32 s1, 7
	s_cbranch_scc1 .LBB6_2215
; %bb.2211:                             ;   in Loop: Header=BB6_2170 Depth=1
	v_mov_b32_e32 v22, 0
	v_mov_b32_e32 v23, 0
	s_cmp_eq_u32 s1, 0
	s_cbranch_scc1 .LBB6_2214
; %bb.2212:                             ;   in Loop: Header=BB6_2170 Depth=1
	s_mov_b64 s[10:11], 0
	s_mov_b64 s[14:15], 0
.LBB6_2213:                             ;   Parent Loop BB6_2170 Depth=1
                                        ; =>  This Inner Loop Header: Depth=2
	s_wait_alu 0xfffe
	s_add_nc_u64 s[20:21], s[12:13], s[14:15]
	s_add_nc_u64 s[14:15], s[14:15], 1
	global_load_u8 v1, v11, s[20:21]
	s_wait_alu 0xfffe
	s_cmp_lg_u32 s1, s14
	s_wait_loadcnt 0x0
	v_and_b32_e32 v10, 0xffff, v1
	s_delay_alu instid0(VALU_DEP_1) | instskip(SKIP_1) | instid1(VALU_DEP_1)
	v_lshlrev_b64_e32 v[1:2], s10, v[10:11]
	s_add_nc_u64 s[10:11], s[10:11], 8
	v_or_b32_e32 v22, v1, v22
	s_delay_alu instid0(VALU_DEP_2)
	v_or_b32_e32 v23, v2, v23
	s_cbranch_scc1 .LBB6_2213
.LBB6_2214:                             ;   in Loop: Header=BB6_2170 Depth=1
	s_mov_b32 s14, 0
	s_mov_b64 s[10:11], s[12:13]
	s_branch .LBB6_2216
.LBB6_2215:                             ;   in Loop: Header=BB6_2170 Depth=1
	s_add_nc_u64 s[10:11], s[12:13], 8
	s_mov_b32 s14, -1
                                        ; implicit-def: $vgpr22_vgpr23
.LBB6_2216:                             ;   in Loop: Header=BB6_2170 Depth=1
	s_wait_alu 0xfffe
	s_and_not1_b32 vcc_lo, exec_lo, s14
	s_mov_b32 s19, 0
	s_wait_alu 0xfffe
	s_cbranch_vccnz .LBB6_2218
; %bb.2217:                             ;   in Loop: Header=BB6_2170 Depth=1
	global_load_b64 v[22:23], v11, s[12:13]
	s_add_co_i32 s19, s1, -8
.LBB6_2218:                             ;   in Loop: Header=BB6_2170 Depth=1
	s_wait_alu 0xfffe
	s_cmp_gt_u32 s19, 7
	s_cbranch_scc1 .LBB6_2223
; %bb.2219:                             ;   in Loop: Header=BB6_2170 Depth=1
	v_mov_b32_e32 v24, 0
	v_mov_b32_e32 v25, 0
	s_cmp_eq_u32 s19, 0
	s_cbranch_scc1 .LBB6_2222
; %bb.2220:                             ;   in Loop: Header=BB6_2170 Depth=1
	s_mov_b64 s[12:13], 0
	s_mov_b64 s[14:15], s[10:11]
.LBB6_2221:                             ;   Parent Loop BB6_2170 Depth=1
                                        ; =>  This Inner Loop Header: Depth=2
	global_load_u8 v1, v11, s[14:15]
	s_add_co_i32 s19, s19, -1
	s_wait_alu 0xfffe
	s_add_nc_u64 s[14:15], s[14:15], 1
	s_cmp_lg_u32 s19, 0
	s_wait_loadcnt 0x0
	v_and_b32_e32 v10, 0xffff, v1
	s_delay_alu instid0(VALU_DEP_1) | instskip(SKIP_1) | instid1(VALU_DEP_1)
	v_lshlrev_b64_e32 v[1:2], s12, v[10:11]
	s_add_nc_u64 s[12:13], s[12:13], 8
	v_or_b32_e32 v24, v1, v24
	s_delay_alu instid0(VALU_DEP_2)
	v_or_b32_e32 v25, v2, v25
	s_cbranch_scc1 .LBB6_2221
.LBB6_2222:                             ;   in Loop: Header=BB6_2170 Depth=1
	s_mov_b32 s1, 0
	s_branch .LBB6_2224
.LBB6_2223:                             ;   in Loop: Header=BB6_2170 Depth=1
	s_mov_b32 s1, -1
.LBB6_2224:                             ;   in Loop: Header=BB6_2170 Depth=1
	s_wait_alu 0xfffe
	s_and_not1_b32 vcc_lo, exec_lo, s1
	s_wait_alu 0xfffe
	s_cbranch_vccnz .LBB6_2226
; %bb.2225:                             ;   in Loop: Header=BB6_2170 Depth=1
	global_load_b64 v[24:25], v11, s[10:11]
.LBB6_2226:                             ;   in Loop: Header=BB6_2170 Depth=1
	v_readfirstlane_b32 s1, v35
	v_mov_b32_e32 v1, 0
	v_mov_b32_e32 v2, 0
	s_wait_alu 0xf1ff
	s_delay_alu instid0(VALU_DEP_3)
	v_cmp_eq_u32_e64 s1, s1, v35
	s_and_saveexec_b32 s10, s1
	s_cbranch_execz .LBB6_2232
; %bb.2227:                             ;   in Loop: Header=BB6_2170 Depth=1
	global_load_b64 v[28:29], v11, s[2:3] offset:24 scope:SCOPE_SYS
	s_wait_loadcnt 0x0
	global_inv scope:SCOPE_SYS
	s_clause 0x1
	global_load_b64 v[1:2], v11, s[2:3] offset:40
	global_load_b64 v[26:27], v11, s[2:3]
	s_mov_b32 s11, exec_lo
	s_wait_loadcnt 0x1
	v_and_b32_e32 v2, v2, v29
	v_and_b32_e32 v1, v1, v28
	s_delay_alu instid0(VALU_DEP_2) | instskip(NEXT) | instid1(VALU_DEP_2)
	v_mul_lo_u32 v2, 24, v2
	v_mul_lo_u32 v10, 0, v1
	v_mul_hi_u32 v31, 24, v1
	v_mul_lo_u32 v1, 24, v1
	s_delay_alu instid0(VALU_DEP_3) | instskip(SKIP_1) | instid1(VALU_DEP_2)
	v_add_nc_u32_e32 v2, v2, v10
	s_wait_loadcnt 0x0
	v_add_co_u32 v1, vcc_lo, v26, v1
	s_delay_alu instid0(VALU_DEP_2) | instskip(SKIP_1) | instid1(VALU_DEP_1)
	v_add_nc_u32_e32 v2, v2, v31
	s_wait_alu 0xfffd
	v_add_co_ci_u32_e64 v2, null, v27, v2, vcc_lo
	global_load_b64 v[26:27], v[1:2], off scope:SCOPE_SYS
	s_wait_loadcnt 0x0
	global_atomic_cmpswap_b64 v[1:2], v11, v[26:29], s[2:3] offset:24 th:TH_ATOMIC_RETURN scope:SCOPE_SYS
	s_wait_loadcnt 0x0
	global_inv scope:SCOPE_SYS
	v_cmpx_ne_u64_e64 v[1:2], v[28:29]
	s_cbranch_execz .LBB6_2231
; %bb.2228:                             ;   in Loop: Header=BB6_2170 Depth=1
	s_mov_b32 s12, 0
.LBB6_2229:                             ;   Parent Loop BB6_2170 Depth=1
                                        ; =>  This Inner Loop Header: Depth=2
	s_sleep 1
	s_clause 0x1
	global_load_b64 v[26:27], v11, s[2:3] offset:40
	global_load_b64 v[31:32], v11, s[2:3]
	v_dual_mov_b32 v29, v2 :: v_dual_mov_b32 v28, v1
	s_wait_loadcnt 0x1
	s_delay_alu instid0(VALU_DEP_1) | instskip(NEXT) | instid1(VALU_DEP_2)
	v_and_b32_e32 v1, v26, v28
	v_and_b32_e32 v10, v27, v29
	s_wait_loadcnt 0x0
	s_delay_alu instid0(VALU_DEP_2) | instskip(NEXT) | instid1(VALU_DEP_1)
	v_mad_co_u64_u32 v[1:2], null, v1, 24, v[31:32]
	v_mad_co_u64_u32 v[26:27], null, v10, 24, v[2:3]
	s_delay_alu instid0(VALU_DEP_1)
	v_mov_b32_e32 v2, v26
	global_load_b64 v[26:27], v[1:2], off scope:SCOPE_SYS
	s_wait_loadcnt 0x0
	global_atomic_cmpswap_b64 v[1:2], v11, v[26:29], s[2:3] offset:24 th:TH_ATOMIC_RETURN scope:SCOPE_SYS
	s_wait_loadcnt 0x0
	global_inv scope:SCOPE_SYS
	v_cmp_eq_u64_e32 vcc_lo, v[1:2], v[28:29]
	s_wait_alu 0xfffe
	s_or_b32 s12, vcc_lo, s12
	s_wait_alu 0xfffe
	s_and_not1_b32 exec_lo, exec_lo, s12
	s_cbranch_execnz .LBB6_2229
; %bb.2230:                             ;   in Loop: Header=BB6_2170 Depth=1
	s_or_b32 exec_lo, exec_lo, s12
.LBB6_2231:                             ;   in Loop: Header=BB6_2170 Depth=1
	s_wait_alu 0xfffe
	s_or_b32 exec_lo, exec_lo, s11
.LBB6_2232:                             ;   in Loop: Header=BB6_2170 Depth=1
	s_wait_alu 0xfffe
	s_or_b32 exec_lo, exec_lo, s10
	s_clause 0x1
	global_load_b64 v[31:32], v11, s[2:3] offset:40
	global_load_b128 v[26:29], v11, s[2:3]
	v_readfirstlane_b32 s11, v2
	v_readfirstlane_b32 s10, v1
	s_mov_b32 s12, exec_lo
	s_wait_loadcnt 0x1
	s_wait_alu 0xf1ff
	v_and_b32_e32 v32, s11, v32
	v_and_b32_e32 v31, s10, v31
	s_delay_alu instid0(VALU_DEP_2) | instskip(NEXT) | instid1(VALU_DEP_2)
	v_mul_lo_u32 v1, 24, v32
	v_mul_lo_u32 v2, 0, v31
	v_mul_hi_u32 v10, 24, v31
	v_mul_lo_u32 v38, 24, v31
	s_delay_alu instid0(VALU_DEP_3) | instskip(NEXT) | instid1(VALU_DEP_1)
	v_add_nc_u32_e32 v1, v1, v2
	v_add_nc_u32_e32 v2, v1, v10
	s_wait_loadcnt 0x0
	s_delay_alu instid0(VALU_DEP_3) | instskip(SKIP_1) | instid1(VALU_DEP_2)
	v_add_co_u32 v1, vcc_lo, v26, v38
	s_wait_alu 0xfffd
	v_add_co_ci_u32_e64 v2, null, v27, v2, vcc_lo
	s_and_saveexec_b32 s13, s1
	s_cbranch_execz .LBB6_2234
; %bb.2233:                             ;   in Loop: Header=BB6_2170 Depth=1
	s_wait_alu 0xfffe
	v_mov_b32_e32 v10, s12
	global_store_b128 v[1:2], v[10:13], off offset:8
.LBB6_2234:                             ;   in Loop: Header=BB6_2170 Depth=1
	s_wait_alu 0xfffe
	s_or_b32 exec_lo, exec_lo, s13
	v_cmp_lt_u64_e64 vcc_lo, s[6:7], 57
	v_lshlrev_b64_e32 v[31:32], 12, v[31:32]
	v_and_b32_e32 v6, 0xffffff1f, v6
	s_lshl_b32 s12, s8, 2
	s_wait_alu 0xfffe
	s_add_co_i32 s12, s12, 28
	s_wait_alu 0xfffd
	v_cndmask_b32_e32 v10, 0, v37, vcc_lo
	v_add_co_u32 v28, vcc_lo, v28, v31
	s_wait_alu 0xfffd
	v_add_co_ci_u32_e64 v29, null, v29, v32, vcc_lo
	s_delay_alu instid0(VALU_DEP_3) | instskip(NEXT) | instid1(VALU_DEP_2)
	v_or_b32_e32 v6, v6, v10
	v_readfirstlane_b32 s13, v29
	s_wait_alu 0xfffe
	s_delay_alu instid0(VALU_DEP_2)
	v_and_or_b32 v6, 0x1e0, s12, v6
	v_readfirstlane_b32 s12, v28
	s_clause 0x3
	global_store_b128 v34, v[6:9], s[12:13]
	global_store_b128 v34, v[14:17], s[12:13] offset:16
	global_store_b128 v34, v[18:21], s[12:13] offset:32
	;; [unrolled: 1-line block ×3, first 2 shown]
	s_and_saveexec_b32 s12, s1
	s_cbranch_execz .LBB6_2242
; %bb.2235:                             ;   in Loop: Header=BB6_2170 Depth=1
	s_clause 0x1
	global_load_b64 v[18:19], v11, s[2:3] offset:32 scope:SCOPE_SYS
	global_load_b64 v[6:7], v11, s[2:3] offset:40
	s_mov_b32 s13, exec_lo
	v_dual_mov_b32 v16, s10 :: v_dual_mov_b32 v17, s11
	s_wait_loadcnt 0x0
	v_and_b32_e32 v6, s10, v6
	v_and_b32_e32 v7, s11, v7
	s_delay_alu instid0(VALU_DEP_2) | instskip(NEXT) | instid1(VALU_DEP_2)
	v_mul_lo_u32 v8, 0, v6
	v_mul_lo_u32 v7, 24, v7
	v_mul_hi_u32 v9, 24, v6
	v_mul_lo_u32 v6, 24, v6
	s_delay_alu instid0(VALU_DEP_3) | instskip(NEXT) | instid1(VALU_DEP_2)
	v_add_nc_u32_e32 v7, v7, v8
	v_add_co_u32 v14, vcc_lo, v26, v6
	s_delay_alu instid0(VALU_DEP_2) | instskip(SKIP_1) | instid1(VALU_DEP_1)
	v_add_nc_u32_e32 v7, v7, v9
	s_wait_alu 0xfffd
	v_add_co_ci_u32_e64 v15, null, v27, v7, vcc_lo
	global_store_b64 v[14:15], v[18:19], off
	global_wb scope:SCOPE_SYS
	s_wait_storecnt 0x0
	global_atomic_cmpswap_b64 v[8:9], v11, v[16:19], s[2:3] offset:32 th:TH_ATOMIC_RETURN scope:SCOPE_SYS
	s_wait_loadcnt 0x0
	v_cmpx_ne_u64_e64 v[8:9], v[18:19]
	s_cbranch_execz .LBB6_2238
; %bb.2236:                             ;   in Loop: Header=BB6_2170 Depth=1
	s_mov_b32 s14, 0
.LBB6_2237:                             ;   Parent Loop BB6_2170 Depth=1
                                        ; =>  This Inner Loop Header: Depth=2
	v_dual_mov_b32 v6, s10 :: v_dual_mov_b32 v7, s11
	s_sleep 1
	global_store_b64 v[14:15], v[8:9], off
	global_wb scope:SCOPE_SYS
	s_wait_storecnt 0x0
	global_atomic_cmpswap_b64 v[6:7], v11, v[6:9], s[2:3] offset:32 th:TH_ATOMIC_RETURN scope:SCOPE_SYS
	s_wait_loadcnt 0x0
	v_cmp_eq_u64_e32 vcc_lo, v[6:7], v[8:9]
	v_dual_mov_b32 v9, v7 :: v_dual_mov_b32 v8, v6
	s_wait_alu 0xfffe
	s_or_b32 s14, vcc_lo, s14
	s_wait_alu 0xfffe
	s_and_not1_b32 exec_lo, exec_lo, s14
	s_cbranch_execnz .LBB6_2237
.LBB6_2238:                             ;   in Loop: Header=BB6_2170 Depth=1
	s_wait_alu 0xfffe
	s_or_b32 exec_lo, exec_lo, s13
	global_load_b64 v[6:7], v11, s[2:3] offset:16
	s_mov_b32 s14, exec_lo
	s_mov_b32 s13, exec_lo
	s_wait_alu 0xfffe
	v_mbcnt_lo_u32_b32 v8, s14, 0
	s_delay_alu instid0(VALU_DEP_1)
	v_cmpx_eq_u32_e32 0, v8
	s_cbranch_execz .LBB6_2240
; %bb.2239:                             ;   in Loop: Header=BB6_2170 Depth=1
	s_bcnt1_i32_b32 s14, s14
	s_wait_alu 0xfffe
	v_mov_b32_e32 v10, s14
	global_wb scope:SCOPE_SYS
	s_wait_loadcnt 0x0
	s_wait_storecnt 0x0
	global_atomic_add_u64 v[6:7], v[10:11], off offset:8 scope:SCOPE_SYS
.LBB6_2240:                             ;   in Loop: Header=BB6_2170 Depth=1
	s_or_b32 exec_lo, exec_lo, s13
	s_wait_loadcnt 0x0
	global_load_b64 v[8:9], v[6:7], off offset:16
	s_wait_loadcnt 0x0
	v_cmp_eq_u64_e32 vcc_lo, 0, v[8:9]
	s_cbranch_vccnz .LBB6_2242
; %bb.2241:                             ;   in Loop: Header=BB6_2170 Depth=1
	global_load_b32 v10, v[6:7], off offset:24
	s_wait_loadcnt 0x0
	v_readfirstlane_b32 s13, v10
	global_wb scope:SCOPE_SYS
	s_wait_storecnt 0x0
	global_store_b64 v[8:9], v[10:11], off scope:SCOPE_SYS
	s_and_b32 m0, s13, 0xffffff
	s_sendmsg sendmsg(MSG_INTERRUPT)
.LBB6_2242:                             ;   in Loop: Header=BB6_2170 Depth=1
	s_wait_alu 0xfffe
	s_or_b32 exec_lo, exec_lo, s12
	v_add_co_u32 v6, vcc_lo, v28, v34
	s_wait_alu 0xfffd
	v_add_co_ci_u32_e64 v7, null, 0, v29, vcc_lo
	s_branch .LBB6_2246
.LBB6_2243:                             ;   in Loop: Header=BB6_2246 Depth=2
	s_wait_alu 0xfffe
	s_or_b32 exec_lo, exec_lo, s12
	s_delay_alu instid0(VALU_DEP_1)
	v_readfirstlane_b32 s12, v8
	s_cmp_eq_u32 s12, 0
	s_cbranch_scc1 .LBB6_2245
; %bb.2244:                             ;   in Loop: Header=BB6_2246 Depth=2
	s_sleep 1
	s_cbranch_execnz .LBB6_2246
	s_branch .LBB6_2248
.LBB6_2245:                             ;   in Loop: Header=BB6_2170 Depth=1
	s_branch .LBB6_2248
.LBB6_2246:                             ;   Parent Loop BB6_2170 Depth=1
                                        ; =>  This Inner Loop Header: Depth=2
	v_mov_b32_e32 v8, 1
	s_and_saveexec_b32 s12, s1
	s_cbranch_execz .LBB6_2243
; %bb.2247:                             ;   in Loop: Header=BB6_2246 Depth=2
	global_load_b32 v8, v[1:2], off offset:20 scope:SCOPE_SYS
	s_wait_loadcnt 0x0
	global_inv scope:SCOPE_SYS
	v_and_b32_e32 v8, 1, v8
	s_branch .LBB6_2243
.LBB6_2248:                             ;   in Loop: Header=BB6_2170 Depth=1
	global_load_b64 v[6:7], v[6:7], off
	s_and_saveexec_b32 s12, s1
	s_cbranch_execz .LBB6_2169
; %bb.2249:                             ;   in Loop: Header=BB6_2170 Depth=1
	s_clause 0x2
	global_load_b64 v[1:2], v11, s[2:3] offset:40
	global_load_b64 v[18:19], v11, s[2:3] offset:24 scope:SCOPE_SYS
	global_load_b64 v[8:9], v11, s[2:3]
	s_wait_loadcnt 0x2
	v_readfirstlane_b32 s14, v1
	v_readfirstlane_b32 s15, v2
	s_add_nc_u64 s[20:21], s[14:15], 1
	s_wait_alu 0xfffe
	s_add_nc_u64 s[10:11], s[20:21], s[10:11]
	s_wait_alu 0xfffe
	s_cmp_eq_u64 s[10:11], 0
	s_cselect_b32 s11, s21, s11
	s_cselect_b32 s10, s20, s10
	s_wait_alu 0xfffe
	v_dual_mov_b32 v17, s11 :: v_dual_mov_b32 v16, s10
	s_and_b64 s[14:15], s[10:11], s[14:15]
	s_wait_alu 0xfffe
	s_mul_u64 s[14:15], s[14:15], 24
	s_wait_loadcnt 0x0
	s_wait_alu 0xfffe
	v_add_co_u32 v1, vcc_lo, v8, s14
	s_wait_alu 0xfffd
	v_add_co_ci_u32_e64 v2, null, s15, v9, vcc_lo
	global_store_b64 v[1:2], v[18:19], off
	global_wb scope:SCOPE_SYS
	s_wait_storecnt 0x0
	global_atomic_cmpswap_b64 v[16:17], v11, v[16:19], s[2:3] offset:24 th:TH_ATOMIC_RETURN scope:SCOPE_SYS
	s_wait_loadcnt 0x0
	v_cmp_ne_u64_e32 vcc_lo, v[16:17], v[18:19]
	s_and_b32 exec_lo, exec_lo, vcc_lo
	s_cbranch_execz .LBB6_2169
; %bb.2250:                             ;   in Loop: Header=BB6_2170 Depth=1
	s_mov_b32 s1, 0
.LBB6_2251:                             ;   Parent Loop BB6_2170 Depth=1
                                        ; =>  This Inner Loop Header: Depth=2
	v_dual_mov_b32 v14, s10 :: v_dual_mov_b32 v15, s11
	s_sleep 1
	global_store_b64 v[1:2], v[16:17], off
	global_wb scope:SCOPE_SYS
	s_wait_storecnt 0x0
	global_atomic_cmpswap_b64 v[8:9], v11, v[14:17], s[2:3] offset:24 th:TH_ATOMIC_RETURN scope:SCOPE_SYS
	s_wait_loadcnt 0x0
	v_cmp_eq_u64_e32 vcc_lo, v[8:9], v[16:17]
	v_dual_mov_b32 v17, v9 :: v_dual_mov_b32 v16, v8
	s_wait_alu 0xfffe
	s_or_b32 s1, vcc_lo, s1
	s_wait_alu 0xfffe
	s_and_not1_b32 exec_lo, exec_lo, s1
	s_cbranch_execnz .LBB6_2251
	s_branch .LBB6_2169
.LBB6_2252:
	s_mov_b32 s1, 0
	s_branch .LBB6_2254
.LBB6_2253:
	s_mov_b32 s1, -1
                                        ; implicit-def: $vgpr6_vgpr7
.LBB6_2254:
	s_wait_alu 0xfffe
	s_and_b32 vcc_lo, exec_lo, s1
	s_wait_alu 0xfffe
	s_cbranch_vccz .LBB6_2281
; %bb.2255:
	v_readfirstlane_b32 s1, v35
	v_mov_b32_e32 v1, 0
	v_mov_b32_e32 v2, 0
	s_wait_alu 0xf1ff
	s_delay_alu instid0(VALU_DEP_3)
	v_cmp_eq_u32_e64 s1, s1, v35
	s_and_saveexec_b32 s4, s1
	s_cbranch_execz .LBB6_2261
; %bb.2256:
	s_wait_loadcnt 0x0
	v_mov_b32_e32 v6, 0
	s_mov_b32 s5, exec_lo
	global_load_b64 v[9:10], v6, s[2:3] offset:24 scope:SCOPE_SYS
	s_wait_loadcnt 0x0
	global_inv scope:SCOPE_SYS
	s_clause 0x1
	global_load_b64 v[1:2], v6, s[2:3] offset:40
	global_load_b64 v[7:8], v6, s[2:3]
	s_wait_loadcnt 0x1
	v_and_b32_e32 v2, v2, v10
	v_and_b32_e32 v1, v1, v9
	s_delay_alu instid0(VALU_DEP_2) | instskip(NEXT) | instid1(VALU_DEP_2)
	v_mul_lo_u32 v2, 24, v2
	v_mul_lo_u32 v11, 0, v1
	v_mul_hi_u32 v12, 24, v1
	v_mul_lo_u32 v1, 24, v1
	s_delay_alu instid0(VALU_DEP_3) | instskip(SKIP_1) | instid1(VALU_DEP_2)
	v_add_nc_u32_e32 v2, v2, v11
	s_wait_loadcnt 0x0
	v_add_co_u32 v1, vcc_lo, v7, v1
	s_delay_alu instid0(VALU_DEP_2) | instskip(SKIP_1) | instid1(VALU_DEP_1)
	v_add_nc_u32_e32 v2, v2, v12
	s_wait_alu 0xfffd
	v_add_co_ci_u32_e64 v2, null, v8, v2, vcc_lo
	global_load_b64 v[7:8], v[1:2], off scope:SCOPE_SYS
	s_wait_loadcnt 0x0
	global_atomic_cmpswap_b64 v[1:2], v6, v[7:10], s[2:3] offset:24 th:TH_ATOMIC_RETURN scope:SCOPE_SYS
	s_wait_loadcnt 0x0
	global_inv scope:SCOPE_SYS
	v_cmpx_ne_u64_e64 v[1:2], v[9:10]
	s_cbranch_execz .LBB6_2260
; %bb.2257:
	s_mov_b32 s6, 0
.LBB6_2258:                             ; =>This Inner Loop Header: Depth=1
	s_sleep 1
	s_clause 0x1
	global_load_b64 v[7:8], v6, s[2:3] offset:40
	global_load_b64 v[11:12], v6, s[2:3]
	v_dual_mov_b32 v10, v2 :: v_dual_mov_b32 v9, v1
	s_wait_loadcnt 0x1
	s_delay_alu instid0(VALU_DEP_1) | instskip(NEXT) | instid1(VALU_DEP_2)
	v_and_b32_e32 v1, v7, v9
	v_and_b32_e32 v7, v8, v10
	s_wait_loadcnt 0x0
	s_delay_alu instid0(VALU_DEP_2) | instskip(NEXT) | instid1(VALU_DEP_1)
	v_mad_co_u64_u32 v[1:2], null, v1, 24, v[11:12]
	v_mad_co_u64_u32 v[7:8], null, v7, 24, v[2:3]
	s_delay_alu instid0(VALU_DEP_1)
	v_mov_b32_e32 v2, v7
	global_load_b64 v[7:8], v[1:2], off scope:SCOPE_SYS
	s_wait_loadcnt 0x0
	global_atomic_cmpswap_b64 v[1:2], v6, v[7:10], s[2:3] offset:24 th:TH_ATOMIC_RETURN scope:SCOPE_SYS
	s_wait_loadcnt 0x0
	global_inv scope:SCOPE_SYS
	v_cmp_eq_u64_e32 vcc_lo, v[1:2], v[9:10]
	s_wait_alu 0xfffe
	s_or_b32 s6, vcc_lo, s6
	s_wait_alu 0xfffe
	s_and_not1_b32 exec_lo, exec_lo, s6
	s_cbranch_execnz .LBB6_2258
; %bb.2259:
	s_or_b32 exec_lo, exec_lo, s6
.LBB6_2260:
	s_wait_alu 0xfffe
	s_or_b32 exec_lo, exec_lo, s5
.LBB6_2261:
	s_wait_alu 0xfffe
	s_or_b32 exec_lo, exec_lo, s4
	v_readfirstlane_b32 s5, v2
	s_wait_loadcnt 0x0
	v_mov_b32_e32 v6, 0
	v_readfirstlane_b32 s4, v1
	s_mov_b32 s6, exec_lo
	s_clause 0x1
	global_load_b64 v[12:13], v6, s[2:3] offset:40
	global_load_b128 v[8:11], v6, s[2:3]
	s_wait_loadcnt 0x1
	s_wait_alu 0xf1ff
	v_and_b32_e32 v13, s5, v13
	v_and_b32_e32 v12, s4, v12
	s_delay_alu instid0(VALU_DEP_2) | instskip(NEXT) | instid1(VALU_DEP_2)
	v_mul_lo_u32 v1, 24, v13
	v_mul_lo_u32 v2, 0, v12
	v_mul_hi_u32 v7, 24, v12
	v_mul_lo_u32 v14, 24, v12
	s_delay_alu instid0(VALU_DEP_3) | instskip(NEXT) | instid1(VALU_DEP_1)
	v_add_nc_u32_e32 v1, v1, v2
	v_add_nc_u32_e32 v2, v1, v7
	s_wait_loadcnt 0x0
	s_delay_alu instid0(VALU_DEP_3) | instskip(SKIP_1) | instid1(VALU_DEP_2)
	v_add_co_u32 v1, vcc_lo, v8, v14
	s_wait_alu 0xfffd
	v_add_co_ci_u32_e64 v2, null, v9, v2, vcc_lo
	s_and_saveexec_b32 s7, s1
	s_cbranch_execz .LBB6_2263
; %bb.2262:
	s_wait_alu 0xfffe
	v_dual_mov_b32 v14, s6 :: v_dual_mov_b32 v15, v6
	v_dual_mov_b32 v16, 2 :: v_dual_mov_b32 v17, 1
	global_store_b128 v[1:2], v[14:17], off offset:8
.LBB6_2263:
	s_wait_alu 0xfffe
	s_or_b32 exec_lo, exec_lo, s7
	v_lshlrev_b64_e32 v[12:13], 12, v[12:13]
	s_mov_b32 s8, 0
	v_and_or_b32 v4, 0xffffff1f, v4, 32
	s_wait_alu 0xfffe
	s_mov_b32 s11, s8
	s_mov_b32 s9, s8
	;; [unrolled: 1-line block ×3, first 2 shown]
	v_add_co_u32 v10, vcc_lo, v10, v12
	s_wait_alu 0xfffd
	v_add_co_ci_u32_e64 v11, null, v11, v13, vcc_lo
	v_mov_b32_e32 v7, v6
	s_delay_alu instid0(VALU_DEP_3) | instskip(SKIP_1) | instid1(VALU_DEP_4)
	v_readfirstlane_b32 s6, v10
	v_add_co_u32 v10, vcc_lo, v10, v34
	v_readfirstlane_b32 s7, v11
	s_wait_alu 0xfffe
	v_dual_mov_b32 v15, s11 :: v_dual_mov_b32 v12, s8
	s_wait_alu 0xfffd
	v_add_co_ci_u32_e64 v11, null, 0, v11, vcc_lo
	v_dual_mov_b32 v14, s10 :: v_dual_mov_b32 v13, s9
	s_clause 0x3
	global_store_b128 v34, v[4:7], s[6:7]
	global_store_b128 v34, v[12:15], s[6:7] offset:16
	global_store_b128 v34, v[12:15], s[6:7] offset:32
	;; [unrolled: 1-line block ×3, first 2 shown]
	s_and_saveexec_b32 s6, s1
	s_cbranch_execz .LBB6_2270
; %bb.2264:
	v_mov_b32_e32 v12, 0
	s_mov_b32 s7, exec_lo
	s_clause 0x1
	global_load_b64 v[15:16], v12, s[2:3] offset:32 scope:SCOPE_SYS
	global_load_b64 v[4:5], v12, s[2:3] offset:40
	v_dual_mov_b32 v13, s4 :: v_dual_mov_b32 v14, s5
	s_wait_loadcnt 0x0
	v_and_b32_e32 v5, s5, v5
	v_and_b32_e32 v4, s4, v4
	s_delay_alu instid0(VALU_DEP_2) | instskip(NEXT) | instid1(VALU_DEP_2)
	v_mul_lo_u32 v5, 24, v5
	v_mul_lo_u32 v6, 0, v4
	v_mul_hi_u32 v7, 24, v4
	v_mul_lo_u32 v4, 24, v4
	s_delay_alu instid0(VALU_DEP_3) | instskip(NEXT) | instid1(VALU_DEP_2)
	v_add_nc_u32_e32 v5, v5, v6
	v_add_co_u32 v8, vcc_lo, v8, v4
	s_delay_alu instid0(VALU_DEP_2) | instskip(SKIP_1) | instid1(VALU_DEP_1)
	v_add_nc_u32_e32 v5, v5, v7
	s_wait_alu 0xfffd
	v_add_co_ci_u32_e64 v9, null, v9, v5, vcc_lo
	global_store_b64 v[8:9], v[15:16], off
	global_wb scope:SCOPE_SYS
	s_wait_storecnt 0x0
	global_atomic_cmpswap_b64 v[6:7], v12, v[13:16], s[2:3] offset:32 th:TH_ATOMIC_RETURN scope:SCOPE_SYS
	s_wait_loadcnt 0x0
	v_cmpx_ne_u64_e64 v[6:7], v[15:16]
	s_cbranch_execz .LBB6_2266
.LBB6_2265:                             ; =>This Inner Loop Header: Depth=1
	v_dual_mov_b32 v4, s4 :: v_dual_mov_b32 v5, s5
	s_sleep 1
	global_store_b64 v[8:9], v[6:7], off
	global_wb scope:SCOPE_SYS
	s_wait_storecnt 0x0
	global_atomic_cmpswap_b64 v[4:5], v12, v[4:7], s[2:3] offset:32 th:TH_ATOMIC_RETURN scope:SCOPE_SYS
	s_wait_loadcnt 0x0
	v_cmp_eq_u64_e32 vcc_lo, v[4:5], v[6:7]
	v_dual_mov_b32 v7, v5 :: v_dual_mov_b32 v6, v4
	s_or_b32 s8, vcc_lo, s8
	s_wait_alu 0xfffe
	s_and_not1_b32 exec_lo, exec_lo, s8
	s_cbranch_execnz .LBB6_2265
.LBB6_2266:
	s_wait_alu 0xfffe
	s_or_b32 exec_lo, exec_lo, s7
	v_mov_b32_e32 v7, 0
	s_mov_b32 s8, exec_lo
	s_mov_b32 s7, exec_lo
	s_wait_alu 0xfffe
	v_mbcnt_lo_u32_b32 v6, s8, 0
	global_load_b64 v[4:5], v7, s[2:3] offset:16
	v_cmpx_eq_u32_e32 0, v6
	s_cbranch_execz .LBB6_2268
; %bb.2267:
	s_bcnt1_i32_b32 s8, s8
	s_wait_alu 0xfffe
	v_mov_b32_e32 v6, s8
	global_wb scope:SCOPE_SYS
	s_wait_loadcnt 0x0
	s_wait_storecnt 0x0
	global_atomic_add_u64 v[4:5], v[6:7], off offset:8 scope:SCOPE_SYS
.LBB6_2268:
	s_or_b32 exec_lo, exec_lo, s7
	s_wait_loadcnt 0x0
	global_load_b64 v[6:7], v[4:5], off offset:16
	s_wait_loadcnt 0x0
	v_cmp_eq_u64_e32 vcc_lo, 0, v[6:7]
	s_cbranch_vccnz .LBB6_2270
; %bb.2269:
	global_load_b32 v4, v[4:5], off offset:24
	v_mov_b32_e32 v5, 0
	s_wait_loadcnt 0x0
	v_readfirstlane_b32 s7, v4
	global_wb scope:SCOPE_SYS
	s_wait_storecnt 0x0
	global_store_b64 v[6:7], v[4:5], off scope:SCOPE_SYS
	s_and_b32 m0, s7, 0xffffff
	s_sendmsg sendmsg(MSG_INTERRUPT)
.LBB6_2270:
	s_wait_alu 0xfffe
	s_or_b32 exec_lo, exec_lo, s6
	s_branch .LBB6_2274
.LBB6_2271:                             ;   in Loop: Header=BB6_2274 Depth=1
	s_wait_alu 0xfffe
	s_or_b32 exec_lo, exec_lo, s6
	s_delay_alu instid0(VALU_DEP_1)
	v_readfirstlane_b32 s6, v4
	s_cmp_eq_u32 s6, 0
	s_cbranch_scc1 .LBB6_2273
; %bb.2272:                             ;   in Loop: Header=BB6_2274 Depth=1
	s_sleep 1
	s_cbranch_execnz .LBB6_2274
	s_branch .LBB6_2276
.LBB6_2273:
	s_branch .LBB6_2276
.LBB6_2274:                             ; =>This Inner Loop Header: Depth=1
	v_mov_b32_e32 v4, 1
	s_and_saveexec_b32 s6, s1
	s_cbranch_execz .LBB6_2271
; %bb.2275:                             ;   in Loop: Header=BB6_2274 Depth=1
	global_load_b32 v4, v[1:2], off offset:20 scope:SCOPE_SYS
	s_wait_loadcnt 0x0
	global_inv scope:SCOPE_SYS
	v_and_b32_e32 v4, 1, v4
	s_branch .LBB6_2271
.LBB6_2276:
	global_load_b64 v[6:7], v[10:11], off
	s_and_saveexec_b32 s6, s1
	s_cbranch_execz .LBB6_2280
; %bb.2277:
	v_mov_b32_e32 v4, 0
	s_clause 0x2
	global_load_b64 v[1:2], v4, s[2:3] offset:40
	global_load_b64 v[12:13], v4, s[2:3] offset:24 scope:SCOPE_SYS
	global_load_b64 v[8:9], v4, s[2:3]
	s_wait_loadcnt 0x2
	v_readfirstlane_b32 s8, v1
	v_readfirstlane_b32 s9, v2
	s_add_nc_u64 s[10:11], s[8:9], 1
	s_wait_alu 0xfffe
	s_add_nc_u64 s[4:5], s[10:11], s[4:5]
	s_wait_alu 0xfffe
	s_cmp_eq_u64 s[4:5], 0
	s_cselect_b32 s5, s11, s5
	s_cselect_b32 s4, s10, s4
	s_wait_alu 0xfffe
	v_mov_b32_e32 v11, s5
	s_and_b64 s[8:9], s[4:5], s[8:9]
	v_mov_b32_e32 v10, s4
	s_wait_alu 0xfffe
	s_mul_u64 s[8:9], s[8:9], 24
	s_wait_loadcnt 0x0
	s_wait_alu 0xfffe
	v_add_co_u32 v1, vcc_lo, v8, s8
	s_wait_alu 0xfffd
	v_add_co_ci_u32_e64 v2, null, s9, v9, vcc_lo
	global_store_b64 v[1:2], v[12:13], off
	global_wb scope:SCOPE_SYS
	s_wait_storecnt 0x0
	global_atomic_cmpswap_b64 v[10:11], v4, v[10:13], s[2:3] offset:24 th:TH_ATOMIC_RETURN scope:SCOPE_SYS
	s_wait_loadcnt 0x0
	v_cmp_ne_u64_e32 vcc_lo, v[10:11], v[12:13]
	s_and_b32 exec_lo, exec_lo, vcc_lo
	s_cbranch_execz .LBB6_2280
; %bb.2278:
	s_mov_b32 s1, 0
.LBB6_2279:                             ; =>This Inner Loop Header: Depth=1
	v_dual_mov_b32 v8, s4 :: v_dual_mov_b32 v9, s5
	s_sleep 1
	global_store_b64 v[1:2], v[10:11], off
	global_wb scope:SCOPE_SYS
	s_wait_storecnt 0x0
	global_atomic_cmpswap_b64 v[8:9], v4, v[8:11], s[2:3] offset:24 th:TH_ATOMIC_RETURN scope:SCOPE_SYS
	s_wait_loadcnt 0x0
	v_cmp_eq_u64_e32 vcc_lo, v[8:9], v[10:11]
	v_dual_mov_b32 v11, v9 :: v_dual_mov_b32 v10, v8
	s_wait_alu 0xfffe
	s_or_b32 s1, vcc_lo, s1
	s_wait_alu 0xfffe
	s_and_not1_b32 exec_lo, exec_lo, s1
	s_cbranch_execnz .LBB6_2279
.LBB6_2280:
	s_wait_alu 0xfffe
	s_or_b32 exec_lo, exec_lo, s6
.LBB6_2281:
	v_readfirstlane_b32 s1, v35
	v_mov_b32_e32 v1, 0
	v_mov_b32_e32 v2, 0
	s_wait_alu 0xf1ff
	s_delay_alu instid0(VALU_DEP_3)
	v_cmp_eq_u32_e64 s1, s1, v35
	s_and_saveexec_b32 s4, s1
	s_cbranch_execz .LBB6_2287
; %bb.2282:
	s_wait_loadcnt 0x0
	v_mov_b32_e32 v4, 0
	s_mov_b32 s5, exec_lo
	global_load_b64 v[10:11], v4, s[2:3] offset:24 scope:SCOPE_SYS
	s_wait_loadcnt 0x0
	global_inv scope:SCOPE_SYS
	s_clause 0x1
	global_load_b64 v[1:2], v4, s[2:3] offset:40
	global_load_b64 v[8:9], v4, s[2:3]
	s_wait_loadcnt 0x1
	v_and_b32_e32 v2, v2, v11
	v_and_b32_e32 v1, v1, v10
	s_delay_alu instid0(VALU_DEP_2) | instskip(NEXT) | instid1(VALU_DEP_2)
	v_mul_lo_u32 v2, 24, v2
	v_mul_lo_u32 v5, 0, v1
	v_mul_hi_u32 v12, 24, v1
	v_mul_lo_u32 v1, 24, v1
	s_delay_alu instid0(VALU_DEP_3) | instskip(SKIP_1) | instid1(VALU_DEP_2)
	v_add_nc_u32_e32 v2, v2, v5
	s_wait_loadcnt 0x0
	v_add_co_u32 v1, vcc_lo, v8, v1
	s_delay_alu instid0(VALU_DEP_2) | instskip(SKIP_1) | instid1(VALU_DEP_1)
	v_add_nc_u32_e32 v2, v2, v12
	s_wait_alu 0xfffd
	v_add_co_ci_u32_e64 v2, null, v9, v2, vcc_lo
	global_load_b64 v[8:9], v[1:2], off scope:SCOPE_SYS
	s_wait_loadcnt 0x0
	global_atomic_cmpswap_b64 v[1:2], v4, v[8:11], s[2:3] offset:24 th:TH_ATOMIC_RETURN scope:SCOPE_SYS
	s_wait_loadcnt 0x0
	global_inv scope:SCOPE_SYS
	v_cmpx_ne_u64_e64 v[1:2], v[10:11]
	s_cbranch_execz .LBB6_2286
; %bb.2283:
	s_mov_b32 s6, 0
.LBB6_2284:                             ; =>This Inner Loop Header: Depth=1
	s_sleep 1
	s_clause 0x1
	global_load_b64 v[8:9], v4, s[2:3] offset:40
	global_load_b64 v[12:13], v4, s[2:3]
	v_dual_mov_b32 v11, v2 :: v_dual_mov_b32 v10, v1
	s_wait_loadcnt 0x1
	s_delay_alu instid0(VALU_DEP_1) | instskip(NEXT) | instid1(VALU_DEP_2)
	v_and_b32_e32 v1, v8, v10
	v_and_b32_e32 v5, v9, v11
	s_wait_loadcnt 0x0
	s_delay_alu instid0(VALU_DEP_2) | instskip(NEXT) | instid1(VALU_DEP_1)
	v_mad_co_u64_u32 v[1:2], null, v1, 24, v[12:13]
	v_mad_co_u64_u32 v[8:9], null, v5, 24, v[2:3]
	s_delay_alu instid0(VALU_DEP_1)
	v_mov_b32_e32 v2, v8
	global_load_b64 v[8:9], v[1:2], off scope:SCOPE_SYS
	s_wait_loadcnt 0x0
	global_atomic_cmpswap_b64 v[1:2], v4, v[8:11], s[2:3] offset:24 th:TH_ATOMIC_RETURN scope:SCOPE_SYS
	s_wait_loadcnt 0x0
	global_inv scope:SCOPE_SYS
	v_cmp_eq_u64_e32 vcc_lo, v[1:2], v[10:11]
	s_wait_alu 0xfffe
	s_or_b32 s6, vcc_lo, s6
	s_wait_alu 0xfffe
	s_and_not1_b32 exec_lo, exec_lo, s6
	s_cbranch_execnz .LBB6_2284
; %bb.2285:
	s_or_b32 exec_lo, exec_lo, s6
.LBB6_2286:
	s_wait_alu 0xfffe
	s_or_b32 exec_lo, exec_lo, s5
.LBB6_2287:
	s_wait_alu 0xfffe
	s_or_b32 exec_lo, exec_lo, s4
	v_readfirstlane_b32 s4, v1
	v_mov_b32_e32 v9, 0
	v_readfirstlane_b32 s5, v2
	s_mov_b32 s6, exec_lo
	s_wait_loadcnt 0x0
	s_clause 0x1
	global_load_b64 v[4:5], v9, s[2:3] offset:40
	global_load_b128 v[10:13], v9, s[2:3]
	s_wait_loadcnt 0x1
	s_wait_alu 0xf1ff
	v_and_b32_e32 v5, s5, v5
	v_and_b32_e32 v4, s4, v4
	s_delay_alu instid0(VALU_DEP_2) | instskip(NEXT) | instid1(VALU_DEP_2)
	v_mul_lo_u32 v1, 24, v5
	v_mul_lo_u32 v2, 0, v4
	v_mul_hi_u32 v8, 24, v4
	v_mul_lo_u32 v14, 24, v4
	s_delay_alu instid0(VALU_DEP_3) | instskip(NEXT) | instid1(VALU_DEP_1)
	v_add_nc_u32_e32 v1, v1, v2
	v_add_nc_u32_e32 v2, v1, v8
	s_wait_loadcnt 0x0
	s_delay_alu instid0(VALU_DEP_3) | instskip(SKIP_1) | instid1(VALU_DEP_2)
	v_add_co_u32 v1, vcc_lo, v10, v14
	s_wait_alu 0xfffd
	v_add_co_ci_u32_e64 v2, null, v11, v2, vcc_lo
	s_and_saveexec_b32 s7, s1
	s_cbranch_execz .LBB6_2289
; %bb.2288:
	s_wait_alu 0xfffe
	v_dual_mov_b32 v8, s6 :: v_dual_mov_b32 v17, 1
	v_dual_mov_b32 v16, 2 :: v_dual_mov_b32 v15, v9
	s_delay_alu instid0(VALU_DEP_2)
	v_mov_b32_e32 v14, v8
	global_store_b128 v[1:2], v[14:17], off offset:8
.LBB6_2289:
	s_wait_alu 0xfffe
	s_or_b32 exec_lo, exec_lo, s7
	v_lshlrev_b64_e32 v[4:5], 12, v[4:5]
	s_mov_b32 s8, 0
	v_and_or_b32 v6, 0xffffff1f, v6, 32
	s_wait_alu 0xfffe
	s_mov_b32 s11, s8
	s_mov_b32 s9, s8
	;; [unrolled: 1-line block ×3, first 2 shown]
	v_add_co_u32 v4, vcc_lo, v12, v4
	s_wait_alu 0xfffd
	v_add_co_ci_u32_e64 v5, null, v13, v5, vcc_lo
	s_wait_alu 0xfffe
	v_dual_mov_b32 v8, v36 :: v_dual_mov_b32 v17, s11
	v_add_co_u32 v12, vcc_lo, v4, v34
	v_readfirstlane_b32 s6, v4
	v_readfirstlane_b32 s7, v5
	s_wait_alu 0xfffd
	v_add_co_ci_u32_e64 v13, null, 0, v5, vcc_lo
	v_dual_mov_b32 v16, s10 :: v_dual_mov_b32 v15, s9
	v_mov_b32_e32 v14, s8
	s_clause 0x3
	global_store_b128 v34, v[6:9], s[6:7]
	global_store_b128 v34, v[14:17], s[6:7] offset:16
	global_store_b128 v34, v[14:17], s[6:7] offset:32
	;; [unrolled: 1-line block ×3, first 2 shown]
	s_and_saveexec_b32 s6, s1
	s_cbranch_execz .LBB6_2296
; %bb.2290:
	v_mov_b32_e32 v14, 0
	s_mov_b32 s7, exec_lo
	s_clause 0x1
	global_load_b64 v[17:18], v14, s[2:3] offset:32 scope:SCOPE_SYS
	global_load_b64 v[4:5], v14, s[2:3] offset:40
	v_dual_mov_b32 v15, s4 :: v_dual_mov_b32 v16, s5
	s_wait_loadcnt 0x0
	v_and_b32_e32 v5, s5, v5
	v_and_b32_e32 v4, s4, v4
	s_delay_alu instid0(VALU_DEP_2) | instskip(NEXT) | instid1(VALU_DEP_2)
	v_mul_lo_u32 v5, 24, v5
	v_mul_lo_u32 v6, 0, v4
	v_mul_hi_u32 v7, 24, v4
	v_mul_lo_u32 v4, 24, v4
	s_delay_alu instid0(VALU_DEP_3) | instskip(NEXT) | instid1(VALU_DEP_2)
	v_add_nc_u32_e32 v5, v5, v6
	v_add_co_u32 v8, vcc_lo, v10, v4
	s_delay_alu instid0(VALU_DEP_2) | instskip(SKIP_1) | instid1(VALU_DEP_1)
	v_add_nc_u32_e32 v5, v5, v7
	s_wait_alu 0xfffd
	v_add_co_ci_u32_e64 v9, null, v11, v5, vcc_lo
	global_store_b64 v[8:9], v[17:18], off
	global_wb scope:SCOPE_SYS
	s_wait_storecnt 0x0
	global_atomic_cmpswap_b64 v[6:7], v14, v[15:18], s[2:3] offset:32 th:TH_ATOMIC_RETURN scope:SCOPE_SYS
	s_wait_loadcnt 0x0
	v_cmpx_ne_u64_e64 v[6:7], v[17:18]
	s_cbranch_execz .LBB6_2292
.LBB6_2291:                             ; =>This Inner Loop Header: Depth=1
	v_dual_mov_b32 v4, s4 :: v_dual_mov_b32 v5, s5
	s_sleep 1
	global_store_b64 v[8:9], v[6:7], off
	global_wb scope:SCOPE_SYS
	s_wait_storecnt 0x0
	global_atomic_cmpswap_b64 v[4:5], v14, v[4:7], s[2:3] offset:32 th:TH_ATOMIC_RETURN scope:SCOPE_SYS
	s_wait_loadcnt 0x0
	v_cmp_eq_u64_e32 vcc_lo, v[4:5], v[6:7]
	v_dual_mov_b32 v7, v5 :: v_dual_mov_b32 v6, v4
	s_or_b32 s8, vcc_lo, s8
	s_wait_alu 0xfffe
	s_and_not1_b32 exec_lo, exec_lo, s8
	s_cbranch_execnz .LBB6_2291
.LBB6_2292:
	s_wait_alu 0xfffe
	s_or_b32 exec_lo, exec_lo, s7
	v_mov_b32_e32 v7, 0
	s_mov_b32 s8, exec_lo
	s_mov_b32 s7, exec_lo
	s_wait_alu 0xfffe
	v_mbcnt_lo_u32_b32 v6, s8, 0
	global_load_b64 v[4:5], v7, s[2:3] offset:16
	v_cmpx_eq_u32_e32 0, v6
	s_cbranch_execz .LBB6_2294
; %bb.2293:
	s_bcnt1_i32_b32 s8, s8
	s_wait_alu 0xfffe
	v_mov_b32_e32 v6, s8
	global_wb scope:SCOPE_SYS
	s_wait_loadcnt 0x0
	s_wait_storecnt 0x0
	global_atomic_add_u64 v[4:5], v[6:7], off offset:8 scope:SCOPE_SYS
.LBB6_2294:
	s_or_b32 exec_lo, exec_lo, s7
	s_wait_loadcnt 0x0
	global_load_b64 v[6:7], v[4:5], off offset:16
	s_wait_loadcnt 0x0
	v_cmp_eq_u64_e32 vcc_lo, 0, v[6:7]
	s_cbranch_vccnz .LBB6_2296
; %bb.2295:
	global_load_b32 v4, v[4:5], off offset:24
	v_mov_b32_e32 v5, 0
	s_wait_loadcnt 0x0
	v_readfirstlane_b32 s7, v4
	global_wb scope:SCOPE_SYS
	s_wait_storecnt 0x0
	global_store_b64 v[6:7], v[4:5], off scope:SCOPE_SYS
	s_and_b32 m0, s7, 0xffffff
	s_sendmsg sendmsg(MSG_INTERRUPT)
.LBB6_2296:
	s_wait_alu 0xfffe
	s_or_b32 exec_lo, exec_lo, s6
	s_branch .LBB6_2300
.LBB6_2297:                             ;   in Loop: Header=BB6_2300 Depth=1
	s_wait_alu 0xfffe
	s_or_b32 exec_lo, exec_lo, s6
	s_delay_alu instid0(VALU_DEP_1)
	v_readfirstlane_b32 s6, v4
	s_cmp_eq_u32 s6, 0
	s_cbranch_scc1 .LBB6_2299
; %bb.2298:                             ;   in Loop: Header=BB6_2300 Depth=1
	s_sleep 1
	s_cbranch_execnz .LBB6_2300
	s_branch .LBB6_2302
.LBB6_2299:
	s_branch .LBB6_2302
.LBB6_2300:                             ; =>This Inner Loop Header: Depth=1
	v_mov_b32_e32 v4, 1
	s_and_saveexec_b32 s6, s1
	s_cbranch_execz .LBB6_2297
; %bb.2301:                             ;   in Loop: Header=BB6_2300 Depth=1
	global_load_b32 v4, v[1:2], off offset:20 scope:SCOPE_SYS
	s_wait_loadcnt 0x0
	global_inv scope:SCOPE_SYS
	v_and_b32_e32 v4, 1, v4
	s_branch .LBB6_2297
.LBB6_2302:
	global_load_b64 v[1:2], v[12:13], off
	s_and_saveexec_b32 s6, s1
	s_cbranch_execz .LBB6_2306
; %bb.2303:
	v_mov_b32_e32 v10, 0
	s_clause 0x2
	global_load_b64 v[4:5], v10, s[2:3] offset:40
	global_load_b64 v[13:14], v10, s[2:3] offset:24 scope:SCOPE_SYS
	global_load_b64 v[6:7], v10, s[2:3]
	s_wait_loadcnt 0x2
	v_readfirstlane_b32 s8, v4
	v_readfirstlane_b32 s9, v5
	s_add_nc_u64 s[10:11], s[8:9], 1
	s_wait_alu 0xfffe
	s_add_nc_u64 s[4:5], s[10:11], s[4:5]
	s_wait_alu 0xfffe
	s_cmp_eq_u64 s[4:5], 0
	s_cselect_b32 s5, s11, s5
	s_cselect_b32 s4, s10, s4
	s_wait_alu 0xfffe
	v_mov_b32_e32 v12, s5
	s_and_b64 s[8:9], s[4:5], s[8:9]
	v_mov_b32_e32 v11, s4
	s_wait_alu 0xfffe
	s_mul_u64 s[8:9], s[8:9], 24
	s_wait_loadcnt 0x0
	s_wait_alu 0xfffe
	v_add_co_u32 v8, vcc_lo, v6, s8
	s_wait_alu 0xfffd
	v_add_co_ci_u32_e64 v9, null, s9, v7, vcc_lo
	global_store_b64 v[8:9], v[13:14], off
	global_wb scope:SCOPE_SYS
	s_wait_storecnt 0x0
	global_atomic_cmpswap_b64 v[6:7], v10, v[11:14], s[2:3] offset:24 th:TH_ATOMIC_RETURN scope:SCOPE_SYS
	s_wait_loadcnt 0x0
	v_cmp_ne_u64_e32 vcc_lo, v[6:7], v[13:14]
	s_and_b32 exec_lo, exec_lo, vcc_lo
	s_cbranch_execz .LBB6_2306
; %bb.2304:
	s_mov_b32 s1, 0
.LBB6_2305:                             ; =>This Inner Loop Header: Depth=1
	v_dual_mov_b32 v4, s4 :: v_dual_mov_b32 v5, s5
	s_sleep 1
	global_store_b64 v[8:9], v[6:7], off
	global_wb scope:SCOPE_SYS
	s_wait_storecnt 0x0
	global_atomic_cmpswap_b64 v[4:5], v10, v[4:7], s[2:3] offset:24 th:TH_ATOMIC_RETURN scope:SCOPE_SYS
	s_wait_loadcnt 0x0
	v_cmp_eq_u64_e32 vcc_lo, v[4:5], v[6:7]
	v_dual_mov_b32 v7, v5 :: v_dual_mov_b32 v6, v4
	s_wait_alu 0xfffe
	s_or_b32 s1, vcc_lo, s1
	s_wait_alu 0xfffe
	s_and_not1_b32 exec_lo, exec_lo, s1
	s_cbranch_execnz .LBB6_2305
.LBB6_2306:
	s_wait_alu 0xfffe
	s_or_b32 exec_lo, exec_lo, s6
	v_readfirstlane_b32 s1, v35
	v_mov_b32_e32 v9, 0
	v_mov_b32_e32 v10, 0
	s_wait_alu 0xf1ff
	s_delay_alu instid0(VALU_DEP_3)
	v_cmp_eq_u32_e64 s1, s1, v35
	s_and_saveexec_b32 s4, s1
	s_cbranch_execz .LBB6_2312
; %bb.2307:
	v_mov_b32_e32 v4, 0
	s_mov_b32 s5, exec_lo
	global_load_b64 v[7:8], v4, s[2:3] offset:24 scope:SCOPE_SYS
	s_wait_loadcnt 0x0
	global_inv scope:SCOPE_SYS
	s_clause 0x1
	global_load_b64 v[5:6], v4, s[2:3] offset:40
	global_load_b64 v[9:10], v4, s[2:3]
	s_wait_loadcnt 0x1
	v_and_b32_e32 v6, v6, v8
	v_and_b32_e32 v5, v5, v7
	s_delay_alu instid0(VALU_DEP_2) | instskip(NEXT) | instid1(VALU_DEP_2)
	v_mul_lo_u32 v6, 24, v6
	v_mul_lo_u32 v11, 0, v5
	v_mul_hi_u32 v12, 24, v5
	v_mul_lo_u32 v5, 24, v5
	s_delay_alu instid0(VALU_DEP_3) | instskip(SKIP_1) | instid1(VALU_DEP_2)
	v_add_nc_u32_e32 v6, v6, v11
	s_wait_loadcnt 0x0
	v_add_co_u32 v5, vcc_lo, v9, v5
	s_delay_alu instid0(VALU_DEP_2) | instskip(SKIP_1) | instid1(VALU_DEP_1)
	v_add_nc_u32_e32 v6, v6, v12
	s_wait_alu 0xfffd
	v_add_co_ci_u32_e64 v6, null, v10, v6, vcc_lo
	global_load_b64 v[5:6], v[5:6], off scope:SCOPE_SYS
	s_wait_loadcnt 0x0
	global_atomic_cmpswap_b64 v[9:10], v4, v[5:8], s[2:3] offset:24 th:TH_ATOMIC_RETURN scope:SCOPE_SYS
	s_wait_loadcnt 0x0
	global_inv scope:SCOPE_SYS
	v_cmpx_ne_u64_e64 v[9:10], v[7:8]
	s_cbranch_execz .LBB6_2311
; %bb.2308:
	s_mov_b32 s6, 0
.LBB6_2309:                             ; =>This Inner Loop Header: Depth=1
	s_sleep 1
	s_clause 0x1
	global_load_b64 v[5:6], v4, s[2:3] offset:40
	global_load_b64 v[11:12], v4, s[2:3]
	v_dual_mov_b32 v7, v9 :: v_dual_mov_b32 v8, v10
	s_wait_loadcnt 0x1
	s_delay_alu instid0(VALU_DEP_1) | instskip(NEXT) | instid1(VALU_DEP_2)
	v_and_b32_e32 v5, v5, v7
	v_and_b32_e32 v6, v6, v8
	s_wait_loadcnt 0x0
	s_delay_alu instid0(VALU_DEP_2) | instskip(NEXT) | instid1(VALU_DEP_1)
	v_mad_co_u64_u32 v[9:10], null, v5, 24, v[11:12]
	v_mov_b32_e32 v5, v10
	s_delay_alu instid0(VALU_DEP_1) | instskip(NEXT) | instid1(VALU_DEP_1)
	v_mad_co_u64_u32 v[5:6], null, v6, 24, v[5:6]
	v_mov_b32_e32 v10, v5
	global_load_b64 v[5:6], v[9:10], off scope:SCOPE_SYS
	s_wait_loadcnt 0x0
	global_atomic_cmpswap_b64 v[9:10], v4, v[5:8], s[2:3] offset:24 th:TH_ATOMIC_RETURN scope:SCOPE_SYS
	s_wait_loadcnt 0x0
	global_inv scope:SCOPE_SYS
	v_cmp_eq_u64_e32 vcc_lo, v[9:10], v[7:8]
	s_wait_alu 0xfffe
	s_or_b32 s6, vcc_lo, s6
	s_wait_alu 0xfffe
	s_and_not1_b32 exec_lo, exec_lo, s6
	s_cbranch_execnz .LBB6_2309
; %bb.2310:
	s_or_b32 exec_lo, exec_lo, s6
.LBB6_2311:
	s_wait_alu 0xfffe
	s_or_b32 exec_lo, exec_lo, s5
.LBB6_2312:
	s_wait_alu 0xfffe
	s_or_b32 exec_lo, exec_lo, s4
	v_readfirstlane_b32 s4, v9
	v_mov_b32_e32 v4, 0
	v_readfirstlane_b32 s5, v10
	s_mov_b32 s6, exec_lo
	s_clause 0x1
	global_load_b64 v[11:12], v4, s[2:3] offset:40
	global_load_b128 v[5:8], v4, s[2:3]
	s_wait_loadcnt 0x1
	s_wait_alu 0xf1ff
	v_and_b32_e32 v12, s5, v12
	v_and_b32_e32 v11, s4, v11
	s_delay_alu instid0(VALU_DEP_2) | instskip(NEXT) | instid1(VALU_DEP_2)
	v_mul_lo_u32 v9, 24, v12
	v_mul_lo_u32 v10, 0, v11
	v_mul_hi_u32 v13, 24, v11
	v_mul_lo_u32 v14, 24, v11
	s_delay_alu instid0(VALU_DEP_3) | instskip(NEXT) | instid1(VALU_DEP_1)
	v_add_nc_u32_e32 v9, v9, v10
	v_add_nc_u32_e32 v10, v9, v13
	s_wait_loadcnt 0x0
	s_delay_alu instid0(VALU_DEP_3) | instskip(SKIP_1) | instid1(VALU_DEP_2)
	v_add_co_u32 v9, vcc_lo, v5, v14
	s_wait_alu 0xfffd
	v_add_co_ci_u32_e64 v10, null, v6, v10, vcc_lo
	s_and_saveexec_b32 s7, s1
	s_cbranch_execz .LBB6_2314
; %bb.2313:
	s_wait_alu 0xfffe
	v_dual_mov_b32 v13, s6 :: v_dual_mov_b32 v14, v4
	v_dual_mov_b32 v15, 2 :: v_dual_mov_b32 v16, 1
	global_store_b128 v[9:10], v[13:16], off offset:8
.LBB6_2314:
	s_wait_alu 0xfffe
	s_or_b32 exec_lo, exec_lo, s7
	v_lshlrev_b64_e32 v[11:12], 12, v[11:12]
	s_mov_b32 s8, 0
	v_and_or_b32 v1, 0xffffff1d, v1, 34
	s_wait_alu 0xfffe
	s_mov_b32 s11, s8
	s_mov_b32 s9, s8
	;; [unrolled: 1-line block ×3, first 2 shown]
	v_add_co_u32 v7, vcc_lo, v7, v11
	s_wait_alu 0xfffd
	v_add_co_ci_u32_e64 v8, null, v8, v12, vcc_lo
	s_wait_alu 0xfffe
	v_dual_mov_b32 v14, s11 :: v_dual_mov_b32 v13, s10
	v_readfirstlane_b32 s6, v7
	s_delay_alu instid0(VALU_DEP_3)
	v_readfirstlane_b32 s7, v8
	v_dual_mov_b32 v12, s9 :: v_dual_mov_b32 v11, s8
	s_clause 0x3
	global_store_b128 v34, v[1:4], s[6:7]
	global_store_b128 v34, v[11:14], s[6:7] offset:16
	global_store_b128 v34, v[11:14], s[6:7] offset:32
	;; [unrolled: 1-line block ×3, first 2 shown]
	s_and_saveexec_b32 s6, s1
	s_cbranch_execz .LBB6_2321
; %bb.2315:
	v_mov_b32_e32 v7, 0
	s_mov_b32 s7, exec_lo
	s_clause 0x1
	global_load_b64 v[13:14], v7, s[2:3] offset:32 scope:SCOPE_SYS
	global_load_b64 v[1:2], v7, s[2:3] offset:40
	v_dual_mov_b32 v12, s5 :: v_dual_mov_b32 v11, s4
	s_wait_loadcnt 0x0
	v_and_b32_e32 v2, s5, v2
	v_and_b32_e32 v1, s4, v1
	s_delay_alu instid0(VALU_DEP_2) | instskip(NEXT) | instid1(VALU_DEP_2)
	v_mul_lo_u32 v2, 24, v2
	v_mul_lo_u32 v3, 0, v1
	v_mul_hi_u32 v4, 24, v1
	v_mul_lo_u32 v1, 24, v1
	s_delay_alu instid0(VALU_DEP_3) | instskip(NEXT) | instid1(VALU_DEP_2)
	v_add_nc_u32_e32 v2, v2, v3
	v_add_co_u32 v5, vcc_lo, v5, v1
	s_delay_alu instid0(VALU_DEP_2) | instskip(SKIP_1) | instid1(VALU_DEP_1)
	v_add_nc_u32_e32 v2, v2, v4
	s_wait_alu 0xfffd
	v_add_co_ci_u32_e64 v6, null, v6, v2, vcc_lo
	global_store_b64 v[5:6], v[13:14], off
	global_wb scope:SCOPE_SYS
	s_wait_storecnt 0x0
	global_atomic_cmpswap_b64 v[3:4], v7, v[11:14], s[2:3] offset:32 th:TH_ATOMIC_RETURN scope:SCOPE_SYS
	s_wait_loadcnt 0x0
	v_cmpx_ne_u64_e64 v[3:4], v[13:14]
	s_cbranch_execz .LBB6_2317
.LBB6_2316:                             ; =>This Inner Loop Header: Depth=1
	v_dual_mov_b32 v1, s4 :: v_dual_mov_b32 v2, s5
	s_sleep 1
	global_store_b64 v[5:6], v[3:4], off
	global_wb scope:SCOPE_SYS
	s_wait_storecnt 0x0
	global_atomic_cmpswap_b64 v[1:2], v7, v[1:4], s[2:3] offset:32 th:TH_ATOMIC_RETURN scope:SCOPE_SYS
	s_wait_loadcnt 0x0
	v_cmp_eq_u64_e32 vcc_lo, v[1:2], v[3:4]
	v_dual_mov_b32 v4, v2 :: v_dual_mov_b32 v3, v1
	s_or_b32 s8, vcc_lo, s8
	s_wait_alu 0xfffe
	s_and_not1_b32 exec_lo, exec_lo, s8
	s_cbranch_execnz .LBB6_2316
.LBB6_2317:
	s_wait_alu 0xfffe
	s_or_b32 exec_lo, exec_lo, s7
	v_mov_b32_e32 v4, 0
	s_mov_b32 s8, exec_lo
	s_mov_b32 s7, exec_lo
	s_wait_alu 0xfffe
	v_mbcnt_lo_u32_b32 v3, s8, 0
	global_load_b64 v[1:2], v4, s[2:3] offset:16
	v_cmpx_eq_u32_e32 0, v3
	s_cbranch_execz .LBB6_2319
; %bb.2318:
	s_bcnt1_i32_b32 s8, s8
	s_wait_alu 0xfffe
	v_mov_b32_e32 v3, s8
	global_wb scope:SCOPE_SYS
	s_wait_loadcnt 0x0
	s_wait_storecnt 0x0
	global_atomic_add_u64 v[1:2], v[3:4], off offset:8 scope:SCOPE_SYS
.LBB6_2319:
	s_or_b32 exec_lo, exec_lo, s7
	s_wait_loadcnt 0x0
	global_load_b64 v[3:4], v[1:2], off offset:16
	s_wait_loadcnt 0x0
	v_cmp_eq_u64_e32 vcc_lo, 0, v[3:4]
	s_cbranch_vccnz .LBB6_2321
; %bb.2320:
	global_load_b32 v1, v[1:2], off offset:24
	v_mov_b32_e32 v2, 0
	s_wait_loadcnt 0x0
	v_readfirstlane_b32 s7, v1
	global_wb scope:SCOPE_SYS
	s_wait_storecnt 0x0
	global_store_b64 v[3:4], v[1:2], off scope:SCOPE_SYS
	s_and_b32 m0, s7, 0xffffff
	s_sendmsg sendmsg(MSG_INTERRUPT)
.LBB6_2321:
	s_wait_alu 0xfffe
	s_or_b32 exec_lo, exec_lo, s6
	s_branch .LBB6_2325
.LBB6_2322:                             ;   in Loop: Header=BB6_2325 Depth=1
	s_wait_alu 0xfffe
	s_or_b32 exec_lo, exec_lo, s6
	s_delay_alu instid0(VALU_DEP_1)
	v_readfirstlane_b32 s6, v1
	s_cmp_eq_u32 s6, 0
	s_cbranch_scc1 .LBB6_2324
; %bb.2323:                             ;   in Loop: Header=BB6_2325 Depth=1
	s_sleep 1
	s_cbranch_execnz .LBB6_2325
	s_branch .LBB6_2327
.LBB6_2324:
	s_branch .LBB6_2327
.LBB6_2325:                             ; =>This Inner Loop Header: Depth=1
	v_mov_b32_e32 v1, 1
	s_and_saveexec_b32 s6, s1
	s_cbranch_execz .LBB6_2322
; %bb.2326:                             ;   in Loop: Header=BB6_2325 Depth=1
	global_load_b32 v1, v[9:10], off offset:20 scope:SCOPE_SYS
	s_wait_loadcnt 0x0
	global_inv scope:SCOPE_SYS
	v_and_b32_e32 v1, 1, v1
	s_branch .LBB6_2322
.LBB6_2327:
	s_and_b32 exec_lo, exec_lo, s1
	s_cbranch_execz .LBB6_2331
; %bb.2328:
	v_mov_b32_e32 v7, 0
	s_clause 0x2
	global_load_b64 v[1:2], v7, s[2:3] offset:40
	global_load_b64 v[10:11], v7, s[2:3] offset:24 scope:SCOPE_SYS
	global_load_b64 v[3:4], v7, s[2:3]
	s_wait_loadcnt 0x2
	v_readfirstlane_b32 s6, v1
	v_readfirstlane_b32 s7, v2
	s_add_nc_u64 s[8:9], s[6:7], 1
	s_wait_alu 0xfffe
	s_add_nc_u64 s[4:5], s[8:9], s[4:5]
	s_wait_alu 0xfffe
	s_cmp_eq_u64 s[4:5], 0
	s_cselect_b32 s5, s9, s5
	s_cselect_b32 s4, s8, s4
	s_wait_alu 0xfffe
	v_mov_b32_e32 v9, s5
	s_and_b64 s[6:7], s[4:5], s[6:7]
	v_mov_b32_e32 v8, s4
	s_wait_alu 0xfffe
	s_mul_u64 s[6:7], s[6:7], 24
	s_wait_loadcnt 0x0
	s_wait_alu 0xfffe
	v_add_co_u32 v5, vcc_lo, v3, s6
	s_wait_alu 0xfffd
	v_add_co_ci_u32_e64 v6, null, s7, v4, vcc_lo
	global_store_b64 v[5:6], v[10:11], off
	global_wb scope:SCOPE_SYS
	s_wait_storecnt 0x0
	global_atomic_cmpswap_b64 v[3:4], v7, v[8:11], s[2:3] offset:24 th:TH_ATOMIC_RETURN scope:SCOPE_SYS
	s_wait_loadcnt 0x0
	v_cmp_ne_u64_e32 vcc_lo, v[3:4], v[10:11]
	s_and_b32 exec_lo, exec_lo, vcc_lo
	s_cbranch_execz .LBB6_2331
; %bb.2329:
	s_mov_b32 s1, 0
.LBB6_2330:                             ; =>This Inner Loop Header: Depth=1
	v_dual_mov_b32 v1, s4 :: v_dual_mov_b32 v2, s5
	s_sleep 1
	global_store_b64 v[5:6], v[3:4], off
	global_wb scope:SCOPE_SYS
	s_wait_storecnt 0x0
	global_atomic_cmpswap_b64 v[1:2], v7, v[1:4], s[2:3] offset:24 th:TH_ATOMIC_RETURN scope:SCOPE_SYS
	s_wait_loadcnt 0x0
	v_cmp_eq_u64_e32 vcc_lo, v[1:2], v[3:4]
	v_dual_mov_b32 v4, v2 :: v_dual_mov_b32 v3, v1
	s_wait_alu 0xfffe
	s_or_b32 s1, vcc_lo, s1
	s_wait_alu 0xfffe
	s_and_not1_b32 exec_lo, exec_lo, s1
	s_cbranch_execnz .LBB6_2330
.LBB6_2331:
	s_wait_alu 0xfffe
	s_or_b32 exec_lo, exec_lo, s16
	v_or_b32_e32 v0, v0, v41
	s_xor_b32 s0, s0, -1
	s_mov_b32 s19, 0
                                        ; implicit-def: $vgpr41
	s_delay_alu instid0(VALU_DEP_1)
	v_cmp_lt_i32_e32 vcc_lo, -1, v0
	s_wait_alu 0xfffe
	s_and_b32 s0, vcc_lo, s0
	s_wait_alu 0xfffe
	s_and_saveexec_b32 s1, s0
	s_wait_alu 0xfffe
	s_xor_b32 s0, exec_lo, s1
	s_cbranch_execz .LBB6_2333
; %bb.2332:
	flat_load_b32 v0, v[42:43]
	v_lshl_or_b32 v29, v33, 1, 1
	s_mov_b32 s19, exec_lo
	s_wait_loadcnt_dscnt 0x0
	v_ashrrev_i32_e32 v1, 31, v0
	v_add_nc_u32_e32 v3, 1, v0
	v_lshl_or_b32 v41, v0, 1, 1
	s_delay_alu instid0(VALU_DEP_3) | instskip(NEXT) | instid1(VALU_DEP_1)
	v_lshlrev_b64_e32 v[1:2], 3, v[0:1]
	v_add_co_u32 v1, vcc_lo, v42, v1
	s_wait_alu 0xfffd
	s_delay_alu instid0(VALU_DEP_2)
	v_add_co_ci_u32_e64 v2, null, v43, v2, vcc_lo
	s_clause 0x1
	flat_store_b32 v[42:43], v3
	flat_store_b64 v[1:2], v[29:30] offset:8
.LBB6_2333:
	s_wait_alu 0xfffe
	s_or_saveexec_b32 s20, s0
	s_mov_b32 s0, s17
	s_wait_alu 0xfffe
	s_xor_b32 exec_lo, exec_lo, s20
	s_cbranch_execz .LBB6_2335
; %bb.2334:
	s_getpc_b64 s[0:1]
	s_wait_alu 0xfffe
	s_sext_i32_i16 s1, s1
	s_add_co_u32 s0, s0, .str.46@rel32@lo+12
	s_wait_alu 0xfffe
	s_add_co_ci_u32 s1, s1, .str.46@rel32@hi+24
	s_getpc_b64 s[2:3]
	s_wait_alu 0xfffe
	s_sext_i32_i16 s3, s3
	s_add_co_u32 s2, s2, .str.44@rel32@lo+12
	s_wait_alu 0xfffe
	s_add_co_ci_u32 s3, s3, .str.44@rel32@hi+24
	s_getpc_b64 s[4:5]
	s_wait_alu 0xfffe
	s_sext_i32_i16 s5, s5
	s_add_co_u32 s4, s4, __PRETTY_FUNCTION__._ZN8subgUtil18formAndNodeKeyFlagEiii@rel32@lo+12
	s_wait_alu 0xfffe
	s_add_co_ci_u32 s5, s5, __PRETTY_FUNCTION__._ZN8subgUtil18formAndNodeKeyFlagEiii@rel32@hi+24
	v_dual_mov_b32 v0, s0 :: v_dual_mov_b32 v1, s1
	v_dual_mov_b32 v2, s2 :: v_dual_mov_b32 v3, s3
	;; [unrolled: 1-line block ×3, first 2 shown]
	s_wait_alu 0xfffe
	v_mov_b32_e32 v6, s5
	s_getpc_b64 s[6:7]
	s_wait_alu 0xfffe
	s_sext_i32_i16 s7, s7
	s_add_co_u32 s6, s6, __assert_fail@rel32@lo+12
	s_wait_alu 0xfffe
	s_add_co_ci_u32 s7, s7, __assert_fail@rel32@hi+24
	s_mov_b64 s[8:9], s[52:53]
	s_wait_alu 0xfffe
	s_swappc_b64 s[30:31], s[6:7]
	s_or_b32 s0, s17, exec_lo
.LBB6_2335:
	s_or_b32 exec_lo, exec_lo, s20
	s_delay_alu instid0(SALU_CYCLE_1)
	s_and_not1_b32 s1, s17, exec_lo
	s_wait_alu 0xfffe
	s_and_b32 s0, s0, exec_lo
	s_wait_alu 0xfffe
	s_or_b32 s17, s1, s0
	s_and_b32 s1, s19, exec_lo
.LBB6_2336:
	s_or_b32 exec_lo, exec_lo, s18
	v_readlane_b32 s20, v59, 10
	v_readlane_b32 s21, v59, 9
	;; [unrolled: 1-line block ×11, first 2 shown]
	s_and_not1_b32 s0, s34, exec_lo
	s_wait_alu 0xfffe
	s_and_b32 s2, s17, exec_lo
	s_or_not1_b32 s1, s1, exec_lo
	s_wait_alu 0xfffe
	s_or_b32 s0, s0, s2
.LBB6_2337:
	s_wait_alu 0xfffe
	s_or_b32 exec_lo, exec_lo, s36
	s_mov_b32 s3, s24
	s_and_saveexec_b32 s2, s1
; %bb.2338:
	s_or_b32 s3, s24, exec_lo
; %bb.2339:
	s_wait_alu 0xfffe
	s_or_b32 exec_lo, exec_lo, s2
	s_delay_alu instid0(SALU_CYCLE_1)
	s_and_not1_b32 s1, s34, exec_lo
	s_and_b32 s0, s0, exec_lo
	s_and_b32 s3, s3, exec_lo
	s_wait_alu 0xfffe
	s_or_b32 s2, s1, s0
	s_and_not1_b32 s1, s24, exec_lo
	s_xor_b32 s0, exec_lo, -1
	s_wait_alu 0xfffe
	s_or_b32 s1, s1, s3
.LBB6_2340:
	s_wait_alu 0xfffe
	s_or_b32 exec_lo, exec_lo, s37
	s_delay_alu instid0(SALU_CYCLE_1)
	s_and_not1_b32 s3, s34, exec_lo
	s_and_b32 s2, s2, exec_lo
	s_and_b32 s1, s1, exec_lo
	s_wait_alu 0xfffe
	s_or_b32 s34, s3, s2
	s_and_not1_b32 s2, s24, exec_lo
	s_and_b32 s0, s0, exec_lo
	s_wait_alu 0xfffe
	s_or_b32 s1, s2, s1
.LBB6_2341:
	s_or_b32 exec_lo, exec_lo, s35
	s_delay_alu instid0(SALU_CYCLE_1)
	s_and_not1_b32 s2, s69, exec_lo
	s_and_b32 s3, s34, exec_lo
	s_wait_alu 0xfffe
	s_and_b32 s1, s1, exec_lo
	s_or_b32 s69, s2, s3
	s_and_not1_b32 s2, s24, exec_lo
	s_and_b32 s0, s0, exec_lo
	s_wait_alu 0xfffe
	s_or_b32 s1, s2, s1
.LBB6_2342:
	s_wait_alu 0xfffe
	s_or_b32 exec_lo, exec_lo, s70
	s_delay_alu instid0(SALU_CYCLE_1)
	s_and_not1_b32 s2, s67, exec_lo
	s_and_b32 s3, s69, exec_lo
	s_and_b32 s1, s1, exec_lo
	s_wait_alu 0xfffe
	s_or_b32 s67, s2, s3
	s_and_not1_b32 s2, s24, exec_lo
	s_and_b32 s0, s0, exec_lo
	s_wait_alu 0xfffe
	s_or_b32 s2, s2, s1
.LBB6_2343:
	s_wait_alu 0xfffe
	s_or_b32 exec_lo, exec_lo, s68
	s_delay_alu instid0(SALU_CYCLE_1)
	s_and_not1_b32 s1, s23, exec_lo
	s_and_b32 s3, s67, exec_lo
	s_and_not1_b32 s4, s24, exec_lo
	s_and_b32 s2, s2, exec_lo
	s_wait_alu 0xfffe
	s_or_b32 s3, s1, s3
	s_xor_b32 s1, exec_lo, -1
	s_and_b32 s0, s0, exec_lo
	s_or_b32 s2, s4, s2
.LBB6_2344:
	s_wait_alu 0xfffe
	s_or_b32 exec_lo, exec_lo, s49
	s_delay_alu instid0(SALU_CYCLE_1)
	s_and_not1_b32 s4, s23, exec_lo
	s_and_b32 s3, s3, exec_lo
	s_and_b32 s41, s1, exec_lo
	s_and_not1_b32 s1, s24, exec_lo
	s_and_b32 s2, s2, exec_lo
	s_wait_alu 0xfffe
	s_or_b32 s23, s4, s3
	s_and_b32 s29, s0, exec_lo
	s_or_b32 s24, s1, s2
.LBB6_2345:
	s_or_b32 exec_lo, exec_lo, s40
	s_wait_alu 0xfffe
	s_and_saveexec_b32 s0, s24
	s_wait_alu 0xfffe
	s_or_b32 exec_lo, exec_lo, s0
	s_and_saveexec_b32 s0, s29
	s_wait_alu 0xfffe
	s_xor_b32 s17, exec_lo, s0
	s_cbranch_execz .LBB6_2347
; %bb.2346:
	s_getpc_b64 s[0:1]
	s_wait_alu 0xfffe
	s_sext_i32_i16 s1, s1
	s_add_co_u32 s0, s0, .str.46@rel32@lo+12
	s_wait_alu 0xfffe
	s_add_co_ci_u32 s1, s1, .str.46@rel32@hi+24
	s_getpc_b64 s[2:3]
	s_wait_alu 0xfffe
	s_sext_i32_i16 s3, s3
	s_add_co_u32 s2, s2, .str.44@rel32@lo+12
	s_wait_alu 0xfffe
	s_add_co_ci_u32 s3, s3, .str.44@rel32@hi+24
	s_getpc_b64 s[4:5]
	s_wait_alu 0xfffe
	s_sext_i32_i16 s5, s5
	s_add_co_u32 s4, s4, __PRETTY_FUNCTION__._ZN8subgUtil18formAndNodeKeyFlagEiii@rel32@lo+12
	s_wait_alu 0xfffe
	s_add_co_ci_u32 s5, s5, __PRETTY_FUNCTION__._ZN8subgUtil18formAndNodeKeyFlagEiii@rel32@hi+24
	v_dual_mov_b32 v0, s0 :: v_dual_mov_b32 v1, s1
	v_dual_mov_b32 v2, s2 :: v_dual_mov_b32 v3, s3
	;; [unrolled: 1-line block ×3, first 2 shown]
	s_wait_alu 0xfffe
	v_mov_b32_e32 v6, s5
	s_getpc_b64 s[6:7]
	s_wait_alu 0xfffe
	s_sext_i32_i16 s7, s7
	s_add_co_u32 s6, s6, __assert_fail@rel32@lo+12
	s_wait_alu 0xfffe
	s_add_co_ci_u32 s7, s7, __assert_fail@rel32@hi+24
	s_mov_b64 s[8:9], s[52:53]
	s_wait_alu 0xfffc
	s_swappc_b64 s[30:31], s[6:7]
	s_or_b32 s23, s23, exec_lo
.LBB6_2347:
	s_wait_alu 0xfffe
	s_or_b32 exec_lo, exec_lo, s17
	s_and_saveexec_b32 s17, s41
	s_cbranch_execz .LBB6_2483
; %bb.2348:
	s_load_b64 s[2:3], s[52:53], 0x50
	v_mbcnt_lo_u32_b32 v31, -1, 0
	v_mov_b32_e32 v6, 0
	v_mov_b32_e32 v7, 0
	s_delay_alu instid0(VALU_DEP_3) | instskip(SKIP_1) | instid1(VALU_DEP_1)
	v_readfirstlane_b32 s0, v31
	s_wait_alu 0xf1ff
	v_cmp_eq_u32_e64 s0, s0, v31
	s_and_saveexec_b32 s1, s0
	s_cbranch_execz .LBB6_2354
; %bb.2349:
	v_mov_b32_e32 v0, 0
	s_mov_b32 s4, exec_lo
	s_wait_kmcnt 0x0
	global_load_b64 v[3:4], v0, s[2:3] offset:24 scope:SCOPE_SYS
	s_wait_loadcnt 0x0
	global_inv scope:SCOPE_SYS
	s_clause 0x1
	global_load_b64 v[1:2], v0, s[2:3] offset:40
	global_load_b64 v[5:6], v0, s[2:3]
	s_wait_loadcnt 0x1
	v_and_b32_e32 v2, v2, v4
	v_and_b32_e32 v1, v1, v3
	s_delay_alu instid0(VALU_DEP_2) | instskip(NEXT) | instid1(VALU_DEP_2)
	v_mul_lo_u32 v2, 24, v2
	v_mul_lo_u32 v7, 0, v1
	v_mul_hi_u32 v8, 24, v1
	v_mul_lo_u32 v1, 24, v1
	s_delay_alu instid0(VALU_DEP_3) | instskip(SKIP_1) | instid1(VALU_DEP_2)
	v_add_nc_u32_e32 v2, v2, v7
	s_wait_loadcnt 0x0
	v_add_co_u32 v1, vcc_lo, v5, v1
	s_delay_alu instid0(VALU_DEP_2) | instskip(SKIP_1) | instid1(VALU_DEP_1)
	v_add_nc_u32_e32 v2, v2, v8
	s_wait_alu 0xfffd
	v_add_co_ci_u32_e64 v2, null, v6, v2, vcc_lo
	global_load_b64 v[1:2], v[1:2], off scope:SCOPE_SYS
	s_wait_loadcnt 0x0
	global_atomic_cmpswap_b64 v[6:7], v0, v[1:4], s[2:3] offset:24 th:TH_ATOMIC_RETURN scope:SCOPE_SYS
	s_wait_loadcnt 0x0
	global_inv scope:SCOPE_SYS
	v_cmpx_ne_u64_e64 v[6:7], v[3:4]
	s_cbranch_execz .LBB6_2353
; %bb.2350:
	s_mov_b32 s5, 0
.LBB6_2351:                             ; =>This Inner Loop Header: Depth=1
	s_sleep 1
	s_clause 0x1
	global_load_b64 v[1:2], v0, s[2:3] offset:40
	global_load_b64 v[8:9], v0, s[2:3]
	v_dual_mov_b32 v3, v6 :: v_dual_mov_b32 v4, v7
	s_wait_loadcnt 0x1
	s_delay_alu instid0(VALU_DEP_1) | instskip(NEXT) | instid1(VALU_DEP_2)
	v_and_b32_e32 v1, v1, v3
	v_and_b32_e32 v2, v2, v4
	s_wait_loadcnt 0x0
	s_delay_alu instid0(VALU_DEP_2) | instskip(NEXT) | instid1(VALU_DEP_1)
	v_mad_co_u64_u32 v[5:6], null, v1, 24, v[8:9]
	v_mov_b32_e32 v1, v6
	s_delay_alu instid0(VALU_DEP_1) | instskip(NEXT) | instid1(VALU_DEP_1)
	v_mad_co_u64_u32 v[1:2], null, v2, 24, v[1:2]
	v_mov_b32_e32 v6, v1
	global_load_b64 v[1:2], v[5:6], off scope:SCOPE_SYS
	s_wait_loadcnt 0x0
	global_atomic_cmpswap_b64 v[6:7], v0, v[1:4], s[2:3] offset:24 th:TH_ATOMIC_RETURN scope:SCOPE_SYS
	s_wait_loadcnt 0x0
	global_inv scope:SCOPE_SYS
	v_cmp_eq_u64_e32 vcc_lo, v[6:7], v[3:4]
	s_wait_alu 0xfffe
	s_or_b32 s5, vcc_lo, s5
	s_wait_alu 0xfffe
	s_and_not1_b32 exec_lo, exec_lo, s5
	s_cbranch_execnz .LBB6_2351
; %bb.2352:
	s_or_b32 exec_lo, exec_lo, s5
.LBB6_2353:
	s_wait_alu 0xfffe
	s_or_b32 exec_lo, exec_lo, s4
.LBB6_2354:
	s_wait_alu 0xfffe
	s_or_b32 exec_lo, exec_lo, s1
	v_readfirstlane_b32 s4, v6
	v_mov_b32_e32 v5, 0
	v_readfirstlane_b32 s5, v7
	s_mov_b32 s1, exec_lo
	s_wait_kmcnt 0x0
	s_clause 0x1
	global_load_b64 v[8:9], v5, s[2:3] offset:40
	global_load_b128 v[0:3], v5, s[2:3]
	s_wait_loadcnt 0x1
	s_wait_alu 0xf1ff
	v_and_b32_e32 v11, s5, v9
	s_wait_dscnt 0x1
	v_and_b32_e32 v10, s4, v8
	s_delay_alu instid0(VALU_DEP_2) | instskip(NEXT) | instid1(VALU_DEP_2)
	v_mul_lo_u32 v4, 24, v11
	v_mul_lo_u32 v6, 0, v10
	v_mul_hi_u32 v7, 24, v10
	v_mul_lo_u32 v8, 24, v10
	s_delay_alu instid0(VALU_DEP_3) | instskip(SKIP_1) | instid1(VALU_DEP_2)
	v_add_nc_u32_e32 v4, v4, v6
	s_wait_loadcnt 0x0
	v_add_co_u32 v8, vcc_lo, v0, v8
	s_delay_alu instid0(VALU_DEP_2) | instskip(SKIP_1) | instid1(VALU_DEP_1)
	v_add_nc_u32_e32 v4, v4, v7
	s_wait_alu 0xfffd
	v_add_co_ci_u32_e64 v9, null, v1, v4, vcc_lo
	s_and_saveexec_b32 s6, s0
	s_cbranch_execz .LBB6_2356
; %bb.2355:
	s_wait_alu 0xfffe
	v_dual_mov_b32 v4, s1 :: v_dual_mov_b32 v7, 1
	v_mov_b32_e32 v6, 2
	global_store_b128 v[8:9], v[4:7], off offset:8
.LBB6_2356:
	s_wait_alu 0xfffe
	s_or_b32 exec_lo, exec_lo, s6
	v_lshlrev_b64_e32 v[10:11], 12, v[10:11]
	v_dual_mov_b32 v7, v5 :: v_dual_lshlrev_b32 v30, 6, v31
	s_mov_b32 s8, 0
	s_wait_alu 0xfffe
	s_mov_b32 s11, s8
	s_delay_alu instid0(VALU_DEP_2)
	v_add_co_u32 v2, vcc_lo, v2, v10
	s_wait_alu 0xfffd
	v_add_co_ci_u32_e64 v3, null, v3, v11, vcc_lo
	s_mov_b32 s9, s8
	v_add_co_u32 v10, vcc_lo, v2, v30
	s_mov_b32 s10, s8
	s_wait_alu 0xfffe
	v_dual_mov_b32 v4, 33 :: v_dual_mov_b32 v15, s11
	v_dual_mov_b32 v6, v5 :: v_dual_mov_b32 v13, s9
	v_readfirstlane_b32 s6, v2
	v_readfirstlane_b32 s7, v3
	s_wait_alu 0xfffd
	v_add_co_ci_u32_e64 v11, null, 0, v3, vcc_lo
	v_mov_b32_e32 v14, s10
	v_mov_b32_e32 v12, s8
	s_clause 0x3
	global_store_b128 v30, v[4:7], s[6:7]
	global_store_b128 v30, v[12:15], s[6:7] offset:16
	global_store_b128 v30, v[12:15], s[6:7] offset:32
	;; [unrolled: 1-line block ×3, first 2 shown]
	s_and_saveexec_b32 s1, s0
	s_cbranch_execz .LBB6_2364
; %bb.2357:
	v_mov_b32_e32 v6, 0
	s_mov_b32 s6, exec_lo
	s_clause 0x1
	global_load_b64 v[14:15], v6, s[2:3] offset:32 scope:SCOPE_SYS
	global_load_b64 v[2:3], v6, s[2:3] offset:40
	v_dual_mov_b32 v13, s5 :: v_dual_mov_b32 v12, s4
	s_wait_loadcnt 0x0
	v_and_b32_e32 v3, s5, v3
	v_and_b32_e32 v2, s4, v2
	s_delay_alu instid0(VALU_DEP_2) | instskip(NEXT) | instid1(VALU_DEP_2)
	v_mul_lo_u32 v3, 24, v3
	v_mul_lo_u32 v4, 0, v2
	v_mul_hi_u32 v5, 24, v2
	v_mul_lo_u32 v2, 24, v2
	s_delay_alu instid0(VALU_DEP_3) | instskip(NEXT) | instid1(VALU_DEP_2)
	v_add_nc_u32_e32 v3, v3, v4
	v_add_co_u32 v4, vcc_lo, v0, v2
	s_delay_alu instid0(VALU_DEP_2) | instskip(SKIP_1) | instid1(VALU_DEP_1)
	v_add_nc_u32_e32 v3, v3, v5
	s_wait_alu 0xfffd
	v_add_co_ci_u32_e64 v5, null, v1, v3, vcc_lo
	global_store_b64 v[4:5], v[14:15], off
	global_wb scope:SCOPE_SYS
	s_wait_storecnt 0x0
	global_atomic_cmpswap_b64 v[2:3], v6, v[12:15], s[2:3] offset:32 th:TH_ATOMIC_RETURN scope:SCOPE_SYS
	s_wait_loadcnt 0x0
	v_cmpx_ne_u64_e64 v[2:3], v[14:15]
	s_cbranch_execz .LBB6_2360
; %bb.2358:
	s_mov_b32 s7, 0
.LBB6_2359:                             ; =>This Inner Loop Header: Depth=1
	v_dual_mov_b32 v0, s4 :: v_dual_mov_b32 v1, s5
	s_sleep 1
	global_store_b64 v[4:5], v[2:3], off
	global_wb scope:SCOPE_SYS
	s_wait_storecnt 0x0
	global_atomic_cmpswap_b64 v[0:1], v6, v[0:3], s[2:3] offset:32 th:TH_ATOMIC_RETURN scope:SCOPE_SYS
	s_wait_loadcnt 0x0
	v_cmp_eq_u64_e32 vcc_lo, v[0:1], v[2:3]
	v_dual_mov_b32 v3, v1 :: v_dual_mov_b32 v2, v0
	s_wait_alu 0xfffe
	s_or_b32 s7, vcc_lo, s7
	s_wait_alu 0xfffe
	s_and_not1_b32 exec_lo, exec_lo, s7
	s_cbranch_execnz .LBB6_2359
.LBB6_2360:
	s_wait_alu 0xfffe
	s_or_b32 exec_lo, exec_lo, s6
	v_mov_b32_e32 v3, 0
	s_mov_b32 s7, exec_lo
	s_mov_b32 s6, exec_lo
	s_wait_alu 0xfffe
	v_mbcnt_lo_u32_b32 v2, s7, 0
	global_load_b64 v[0:1], v3, s[2:3] offset:16
	v_cmpx_eq_u32_e32 0, v2
	s_cbranch_execz .LBB6_2362
; %bb.2361:
	s_bcnt1_i32_b32 s7, s7
	s_wait_alu 0xfffe
	v_mov_b32_e32 v2, s7
	global_wb scope:SCOPE_SYS
	s_wait_loadcnt 0x0
	s_wait_storecnt 0x0
	global_atomic_add_u64 v[0:1], v[2:3], off offset:8 scope:SCOPE_SYS
.LBB6_2362:
	s_or_b32 exec_lo, exec_lo, s6
	s_wait_loadcnt 0x0
	global_load_b64 v[2:3], v[0:1], off offset:16
	s_wait_loadcnt 0x0
	v_cmp_eq_u64_e32 vcc_lo, 0, v[2:3]
	s_cbranch_vccnz .LBB6_2364
; %bb.2363:
	global_load_b32 v0, v[0:1], off offset:24
	v_mov_b32_e32 v1, 0
	s_wait_loadcnt 0x0
	v_readfirstlane_b32 s6, v0
	global_wb scope:SCOPE_SYS
	s_wait_storecnt 0x0
	global_store_b64 v[2:3], v[0:1], off scope:SCOPE_SYS
	s_and_b32 m0, s6, 0xffffff
	s_sendmsg sendmsg(MSG_INTERRUPT)
.LBB6_2364:
	s_wait_alu 0xfffe
	s_or_b32 exec_lo, exec_lo, s1
	s_branch .LBB6_2368
.LBB6_2365:                             ;   in Loop: Header=BB6_2368 Depth=1
	s_wait_alu 0xfffe
	s_or_b32 exec_lo, exec_lo, s1
	s_delay_alu instid0(VALU_DEP_1)
	v_readfirstlane_b32 s1, v0
	s_cmp_eq_u32 s1, 0
	s_cbranch_scc1 .LBB6_2367
; %bb.2366:                             ;   in Loop: Header=BB6_2368 Depth=1
	s_sleep 1
	s_cbranch_execnz .LBB6_2368
	s_branch .LBB6_2370
.LBB6_2367:
	s_branch .LBB6_2370
.LBB6_2368:                             ; =>This Inner Loop Header: Depth=1
	v_mov_b32_e32 v0, 1
	s_and_saveexec_b32 s1, s0
	s_cbranch_execz .LBB6_2365
; %bb.2369:                             ;   in Loop: Header=BB6_2368 Depth=1
	global_load_b32 v0, v[8:9], off offset:20 scope:SCOPE_SYS
	s_wait_loadcnt 0x0
	global_inv scope:SCOPE_SYS
	v_and_b32_e32 v0, 1, v0
	s_branch .LBB6_2365
.LBB6_2370:
	global_load_b64 v[0:1], v[10:11], off
	s_and_saveexec_b32 s6, s0
	s_cbranch_execz .LBB6_2374
; %bb.2371:
	v_mov_b32_e32 v8, 0
	s_clause 0x2
	global_load_b64 v[2:3], v8, s[2:3] offset:40
	global_load_b64 v[11:12], v8, s[2:3] offset:24 scope:SCOPE_SYS
	global_load_b64 v[4:5], v8, s[2:3]
	s_wait_loadcnt 0x2
	v_readfirstlane_b32 s8, v2
	v_readfirstlane_b32 s9, v3
	s_add_nc_u64 s[0:1], s[8:9], 1
	s_wait_alu 0xfffe
	s_add_nc_u64 s[4:5], s[0:1], s[4:5]
	s_wait_alu 0xfffe
	s_cmp_eq_u64 s[4:5], 0
	s_cselect_b32 s1, s1, s5
	s_cselect_b32 s0, s0, s4
	s_wait_alu 0xfffe
	v_mov_b32_e32 v10, s1
	s_and_b64 s[4:5], s[0:1], s[8:9]
	v_mov_b32_e32 v9, s0
	s_wait_alu 0xfffe
	s_mul_u64 s[4:5], s[4:5], 24
	s_wait_loadcnt 0x0
	s_wait_alu 0xfffe
	v_add_co_u32 v6, vcc_lo, v4, s4
	s_wait_alu 0xfffd
	v_add_co_ci_u32_e64 v7, null, s5, v5, vcc_lo
	global_store_b64 v[6:7], v[11:12], off
	global_wb scope:SCOPE_SYS
	s_wait_storecnt 0x0
	global_atomic_cmpswap_b64 v[4:5], v8, v[9:12], s[2:3] offset:24 th:TH_ATOMIC_RETURN scope:SCOPE_SYS
	s_wait_loadcnt 0x0
	v_cmp_ne_u64_e32 vcc_lo, v[4:5], v[11:12]
	s_and_b32 exec_lo, exec_lo, vcc_lo
	s_cbranch_execz .LBB6_2374
; %bb.2372:
	s_mov_b32 s4, 0
.LBB6_2373:                             ; =>This Inner Loop Header: Depth=1
	v_dual_mov_b32 v2, s0 :: v_dual_mov_b32 v3, s1
	s_sleep 1
	global_store_b64 v[6:7], v[4:5], off
	global_wb scope:SCOPE_SYS
	s_wait_storecnt 0x0
	global_atomic_cmpswap_b64 v[2:3], v8, v[2:5], s[2:3] offset:24 th:TH_ATOMIC_RETURN scope:SCOPE_SYS
	s_wait_loadcnt 0x0
	v_cmp_eq_u64_e32 vcc_lo, v[2:3], v[4:5]
	v_dual_mov_b32 v5, v3 :: v_dual_mov_b32 v4, v2
	s_wait_alu 0xfffe
	s_or_b32 s4, vcc_lo, s4
	s_wait_alu 0xfffe
	s_and_not1_b32 exec_lo, exec_lo, s4
	s_cbranch_execnz .LBB6_2373
.LBB6_2374:
	s_wait_alu 0xfffe
	s_or_b32 exec_lo, exec_lo, s6
	s_getpc_b64 s[4:5]
	s_wait_alu 0xfffe
	s_sext_i32_i16 s5, s5
	s_add_co_u32 s4, s4, .str.28@rel32@lo+12
	s_wait_alu 0xfffe
	s_add_co_ci_u32 s5, s5, .str.28@rel32@hi+24
	s_wait_alu 0xfffe
	s_cmp_lg_u64 s[4:5], 0
	s_cbranch_scc0 .LBB6_2453
; %bb.2375:
	s_wait_loadcnt 0x0
	v_dual_mov_b32 v7, v1 :: v_dual_and_b32 v6, -3, v0
	v_dual_mov_b32 v3, 0 :: v_dual_mov_b32 v4, 2
	v_mov_b32_e32 v5, 1
	s_mov_b64 s[6:7], 35
	s_branch .LBB6_2377
.LBB6_2376:                             ;   in Loop: Header=BB6_2377 Depth=1
	s_wait_alu 0xfffe
	s_or_b32 exec_lo, exec_lo, s12
	s_sub_nc_u64 s[6:7], s[6:7], s[8:9]
	s_add_nc_u64 s[4:5], s[4:5], s[8:9]
	s_wait_alu 0xfffe
	s_cmp_lg_u64 s[6:7], 0
	s_cbranch_scc0 .LBB6_2452
.LBB6_2377:                             ; =>This Loop Header: Depth=1
                                        ;     Child Loop BB6_2380 Depth 2
                                        ;     Child Loop BB6_2387 Depth 2
	;; [unrolled: 1-line block ×11, first 2 shown]
	s_wait_alu 0xfffe
	v_cmp_lt_u64_e64 s0, s[6:7], 56
	v_cmp_gt_u64_e64 s1, s[6:7], 7
	s_and_b32 s0, s0, exec_lo
	s_cselect_b32 s9, s7, 0
	s_cselect_b32 s8, s6, 56
	s_and_b32 vcc_lo, exec_lo, s1
	s_wait_alu 0xfffe
	s_cbranch_vccnz .LBB6_2382
; %bb.2378:                             ;   in Loop: Header=BB6_2377 Depth=1
	s_wait_loadcnt 0x0
	v_mov_b32_e32 v8, 0
	v_mov_b32_e32 v9, 0
	s_cmp_eq_u64 s[6:7], 0
	s_cbranch_scc1 .LBB6_2381
; %bb.2379:                             ;   in Loop: Header=BB6_2377 Depth=1
	s_mov_b64 s[0:1], 0
	s_mov_b64 s[10:11], 0
.LBB6_2380:                             ;   Parent Loop BB6_2377 Depth=1
                                        ; =>  This Inner Loop Header: Depth=2
	s_wait_alu 0xfffe
	s_add_nc_u64 s[12:13], s[4:5], s[10:11]
	s_add_nc_u64 s[10:11], s[10:11], 1
	global_load_u8 v2, v3, s[12:13]
	s_wait_alu 0xfffe
	s_cmp_lg_u32 s8, s10
	s_wait_loadcnt 0x0
	v_and_b32_e32 v2, 0xffff, v2
	s_delay_alu instid0(VALU_DEP_1) | instskip(SKIP_1) | instid1(VALU_DEP_1)
	v_lshlrev_b64_e32 v[10:11], s0, v[2:3]
	s_add_nc_u64 s[0:1], s[0:1], 8
	v_or_b32_e32 v8, v10, v8
	s_delay_alu instid0(VALU_DEP_2)
	v_or_b32_e32 v9, v11, v9
	s_cbranch_scc1 .LBB6_2380
.LBB6_2381:                             ;   in Loop: Header=BB6_2377 Depth=1
	s_mov_b64 s[10:11], s[4:5]
	s_mov_b32 s14, 0
	s_cbranch_execz .LBB6_2383
	s_branch .LBB6_2384
.LBB6_2382:                             ;   in Loop: Header=BB6_2377 Depth=1
	s_add_nc_u64 s[10:11], s[4:5], 8
	s_mov_b32 s14, 0
.LBB6_2383:                             ;   in Loop: Header=BB6_2377 Depth=1
	s_wait_loadcnt 0x0
	global_load_b64 v[8:9], v3, s[4:5]
	s_add_co_i32 s14, s8, -8
.LBB6_2384:                             ;   in Loop: Header=BB6_2377 Depth=1
	s_wait_alu 0xfffe
	s_cmp_gt_u32 s14, 7
	s_cbranch_scc1 .LBB6_2389
; %bb.2385:                             ;   in Loop: Header=BB6_2377 Depth=1
	v_mov_b32_e32 v10, 0
	v_mov_b32_e32 v11, 0
	s_cmp_eq_u32 s14, 0
	s_cbranch_scc1 .LBB6_2388
; %bb.2386:                             ;   in Loop: Header=BB6_2377 Depth=1
	s_mov_b64 s[0:1], 0
	s_mov_b64 s[12:13], 0
.LBB6_2387:                             ;   Parent Loop BB6_2377 Depth=1
                                        ; =>  This Inner Loop Header: Depth=2
	s_wait_alu 0xfffe
	s_add_nc_u64 s[28:29], s[10:11], s[12:13]
	s_add_nc_u64 s[12:13], s[12:13], 1
	global_load_u8 v2, v3, s[28:29]
	s_wait_alu 0xfffe
	s_cmp_lg_u32 s14, s12
	s_wait_loadcnt 0x0
	v_and_b32_e32 v2, 0xffff, v2
	s_delay_alu instid0(VALU_DEP_1) | instskip(SKIP_1) | instid1(VALU_DEP_1)
	v_lshlrev_b64_e32 v[12:13], s0, v[2:3]
	s_add_nc_u64 s[0:1], s[0:1], 8
	v_or_b32_e32 v10, v12, v10
	s_delay_alu instid0(VALU_DEP_2)
	v_or_b32_e32 v11, v13, v11
	s_cbranch_scc1 .LBB6_2387
.LBB6_2388:                             ;   in Loop: Header=BB6_2377 Depth=1
	s_mov_b64 s[0:1], s[10:11]
	s_mov_b32 s15, 0
	s_cbranch_execz .LBB6_2390
	s_branch .LBB6_2391
.LBB6_2389:                             ;   in Loop: Header=BB6_2377 Depth=1
	s_add_nc_u64 s[0:1], s[10:11], 8
                                        ; implicit-def: $vgpr10_vgpr11
	s_mov_b32 s15, 0
.LBB6_2390:                             ;   in Loop: Header=BB6_2377 Depth=1
	global_load_b64 v[10:11], v3, s[10:11]
	s_add_co_i32 s15, s14, -8
.LBB6_2391:                             ;   in Loop: Header=BB6_2377 Depth=1
	s_wait_alu 0xfffe
	s_cmp_gt_u32 s15, 7
	s_cbranch_scc1 .LBB6_2396
; %bb.2392:                             ;   in Loop: Header=BB6_2377 Depth=1
	v_mov_b32_e32 v12, 0
	v_mov_b32_e32 v13, 0
	s_cmp_eq_u32 s15, 0
	s_cbranch_scc1 .LBB6_2395
; %bb.2393:                             ;   in Loop: Header=BB6_2377 Depth=1
	s_mov_b64 s[10:11], 0
	s_mov_b64 s[12:13], 0
.LBB6_2394:                             ;   Parent Loop BB6_2377 Depth=1
                                        ; =>  This Inner Loop Header: Depth=2
	s_wait_alu 0xfffe
	s_add_nc_u64 s[28:29], s[0:1], s[12:13]
	s_add_nc_u64 s[12:13], s[12:13], 1
	global_load_u8 v2, v3, s[28:29]
	s_wait_alu 0xfffe
	s_cmp_lg_u32 s15, s12
	s_wait_loadcnt 0x0
	v_and_b32_e32 v2, 0xffff, v2
	s_delay_alu instid0(VALU_DEP_1) | instskip(SKIP_1) | instid1(VALU_DEP_1)
	v_lshlrev_b64_e32 v[14:15], s10, v[2:3]
	s_add_nc_u64 s[10:11], s[10:11], 8
	v_or_b32_e32 v12, v14, v12
	s_delay_alu instid0(VALU_DEP_2)
	v_or_b32_e32 v13, v15, v13
	s_cbranch_scc1 .LBB6_2394
.LBB6_2395:                             ;   in Loop: Header=BB6_2377 Depth=1
	s_mov_b64 s[10:11], s[0:1]
	s_mov_b32 s14, 0
	s_cbranch_execz .LBB6_2397
	s_branch .LBB6_2398
.LBB6_2396:                             ;   in Loop: Header=BB6_2377 Depth=1
	s_add_nc_u64 s[10:11], s[0:1], 8
	s_mov_b32 s14, 0
.LBB6_2397:                             ;   in Loop: Header=BB6_2377 Depth=1
	global_load_b64 v[12:13], v3, s[0:1]
	s_add_co_i32 s14, s15, -8
.LBB6_2398:                             ;   in Loop: Header=BB6_2377 Depth=1
	s_wait_alu 0xfffe
	s_cmp_gt_u32 s14, 7
	s_cbranch_scc1 .LBB6_2403
; %bb.2399:                             ;   in Loop: Header=BB6_2377 Depth=1
	v_mov_b32_e32 v14, 0
	v_mov_b32_e32 v15, 0
	s_cmp_eq_u32 s14, 0
	s_cbranch_scc1 .LBB6_2402
; %bb.2400:                             ;   in Loop: Header=BB6_2377 Depth=1
	s_mov_b64 s[0:1], 0
	s_mov_b64 s[12:13], 0
.LBB6_2401:                             ;   Parent Loop BB6_2377 Depth=1
                                        ; =>  This Inner Loop Header: Depth=2
	s_wait_alu 0xfffe
	s_add_nc_u64 s[28:29], s[10:11], s[12:13]
	s_add_nc_u64 s[12:13], s[12:13], 1
	global_load_u8 v2, v3, s[28:29]
	s_wait_alu 0xfffe
	s_cmp_lg_u32 s14, s12
	s_wait_loadcnt 0x0
	v_and_b32_e32 v2, 0xffff, v2
	s_delay_alu instid0(VALU_DEP_1) | instskip(SKIP_1) | instid1(VALU_DEP_1)
	v_lshlrev_b64_e32 v[16:17], s0, v[2:3]
	s_add_nc_u64 s[0:1], s[0:1], 8
	v_or_b32_e32 v14, v16, v14
	s_delay_alu instid0(VALU_DEP_2)
	v_or_b32_e32 v15, v17, v15
	s_cbranch_scc1 .LBB6_2401
.LBB6_2402:                             ;   in Loop: Header=BB6_2377 Depth=1
	s_mov_b64 s[0:1], s[10:11]
	s_mov_b32 s15, 0
	s_cbranch_execz .LBB6_2404
	s_branch .LBB6_2405
.LBB6_2403:                             ;   in Loop: Header=BB6_2377 Depth=1
	s_add_nc_u64 s[0:1], s[10:11], 8
                                        ; implicit-def: $vgpr14_vgpr15
	s_mov_b32 s15, 0
.LBB6_2404:                             ;   in Loop: Header=BB6_2377 Depth=1
	global_load_b64 v[14:15], v3, s[10:11]
	s_add_co_i32 s15, s14, -8
.LBB6_2405:                             ;   in Loop: Header=BB6_2377 Depth=1
	s_wait_alu 0xfffe
	s_cmp_gt_u32 s15, 7
	s_cbranch_scc1 .LBB6_2410
; %bb.2406:                             ;   in Loop: Header=BB6_2377 Depth=1
	v_mov_b32_e32 v16, 0
	v_mov_b32_e32 v17, 0
	s_cmp_eq_u32 s15, 0
	s_cbranch_scc1 .LBB6_2409
; %bb.2407:                             ;   in Loop: Header=BB6_2377 Depth=1
	s_mov_b64 s[10:11], 0
	s_mov_b64 s[12:13], 0
.LBB6_2408:                             ;   Parent Loop BB6_2377 Depth=1
                                        ; =>  This Inner Loop Header: Depth=2
	s_wait_alu 0xfffe
	s_add_nc_u64 s[28:29], s[0:1], s[12:13]
	s_add_nc_u64 s[12:13], s[12:13], 1
	global_load_u8 v2, v3, s[28:29]
	s_wait_alu 0xfffe
	s_cmp_lg_u32 s15, s12
	s_wait_loadcnt 0x0
	v_and_b32_e32 v2, 0xffff, v2
	s_delay_alu instid0(VALU_DEP_1) | instskip(SKIP_1) | instid1(VALU_DEP_1)
	v_lshlrev_b64_e32 v[18:19], s10, v[2:3]
	s_add_nc_u64 s[10:11], s[10:11], 8
	v_or_b32_e32 v16, v18, v16
	s_delay_alu instid0(VALU_DEP_2)
	v_or_b32_e32 v17, v19, v17
	s_cbranch_scc1 .LBB6_2408
.LBB6_2409:                             ;   in Loop: Header=BB6_2377 Depth=1
	s_mov_b64 s[10:11], s[0:1]
	s_mov_b32 s14, 0
	s_cbranch_execz .LBB6_2411
	s_branch .LBB6_2412
.LBB6_2410:                             ;   in Loop: Header=BB6_2377 Depth=1
	s_add_nc_u64 s[10:11], s[0:1], 8
	s_mov_b32 s14, 0
.LBB6_2411:                             ;   in Loop: Header=BB6_2377 Depth=1
	global_load_b64 v[16:17], v3, s[0:1]
	s_add_co_i32 s14, s15, -8
.LBB6_2412:                             ;   in Loop: Header=BB6_2377 Depth=1
	s_wait_alu 0xfffe
	s_cmp_gt_u32 s14, 7
	s_cbranch_scc1 .LBB6_2417
; %bb.2413:                             ;   in Loop: Header=BB6_2377 Depth=1
	v_mov_b32_e32 v18, 0
	v_mov_b32_e32 v19, 0
	s_cmp_eq_u32 s14, 0
	s_cbranch_scc1 .LBB6_2416
; %bb.2414:                             ;   in Loop: Header=BB6_2377 Depth=1
	s_mov_b64 s[0:1], 0
	s_mov_b64 s[12:13], 0
.LBB6_2415:                             ;   Parent Loop BB6_2377 Depth=1
                                        ; =>  This Inner Loop Header: Depth=2
	s_wait_alu 0xfffe
	s_add_nc_u64 s[28:29], s[10:11], s[12:13]
	s_add_nc_u64 s[12:13], s[12:13], 1
	global_load_u8 v2, v3, s[28:29]
	s_wait_alu 0xfffe
	s_cmp_lg_u32 s14, s12
	s_wait_loadcnt 0x0
	v_and_b32_e32 v2, 0xffff, v2
	s_delay_alu instid0(VALU_DEP_1) | instskip(SKIP_1) | instid1(VALU_DEP_1)
	v_lshlrev_b64_e32 v[20:21], s0, v[2:3]
	s_add_nc_u64 s[0:1], s[0:1], 8
	v_or_b32_e32 v18, v20, v18
	s_delay_alu instid0(VALU_DEP_2)
	v_or_b32_e32 v19, v21, v19
	s_cbranch_scc1 .LBB6_2415
.LBB6_2416:                             ;   in Loop: Header=BB6_2377 Depth=1
	s_mov_b64 s[0:1], s[10:11]
	s_mov_b32 s15, 0
	s_cbranch_execz .LBB6_2418
	s_branch .LBB6_2419
.LBB6_2417:                             ;   in Loop: Header=BB6_2377 Depth=1
	s_add_nc_u64 s[0:1], s[10:11], 8
                                        ; implicit-def: $vgpr18_vgpr19
	s_mov_b32 s15, 0
.LBB6_2418:                             ;   in Loop: Header=BB6_2377 Depth=1
	global_load_b64 v[18:19], v3, s[10:11]
	s_add_co_i32 s15, s14, -8
.LBB6_2419:                             ;   in Loop: Header=BB6_2377 Depth=1
	s_wait_alu 0xfffe
	s_cmp_gt_u32 s15, 7
	s_cbranch_scc1 .LBB6_2424
; %bb.2420:                             ;   in Loop: Header=BB6_2377 Depth=1
	v_mov_b32_e32 v20, 0
	v_mov_b32_e32 v21, 0
	s_cmp_eq_u32 s15, 0
	s_cbranch_scc1 .LBB6_2423
; %bb.2421:                             ;   in Loop: Header=BB6_2377 Depth=1
	s_mov_b64 s[10:11], 0
	s_mov_b64 s[12:13], s[0:1]
.LBB6_2422:                             ;   Parent Loop BB6_2377 Depth=1
                                        ; =>  This Inner Loop Header: Depth=2
	global_load_u8 v2, v3, s[12:13]
	s_add_co_i32 s15, s15, -1
	s_wait_alu 0xfffe
	s_add_nc_u64 s[12:13], s[12:13], 1
	s_cmp_lg_u32 s15, 0
	s_wait_loadcnt 0x0
	v_and_b32_e32 v2, 0xffff, v2
	s_delay_alu instid0(VALU_DEP_1) | instskip(SKIP_1) | instid1(VALU_DEP_1)
	v_lshlrev_b64_e32 v[22:23], s10, v[2:3]
	s_add_nc_u64 s[10:11], s[10:11], 8
	v_or_b32_e32 v20, v22, v20
	s_delay_alu instid0(VALU_DEP_2)
	v_or_b32_e32 v21, v23, v21
	s_cbranch_scc1 .LBB6_2422
.LBB6_2423:                             ;   in Loop: Header=BB6_2377 Depth=1
	s_cbranch_execz .LBB6_2425
	s_branch .LBB6_2426
.LBB6_2424:                             ;   in Loop: Header=BB6_2377 Depth=1
.LBB6_2425:                             ;   in Loop: Header=BB6_2377 Depth=1
	global_load_b64 v[20:21], v3, s[0:1]
.LBB6_2426:                             ;   in Loop: Header=BB6_2377 Depth=1
	v_readfirstlane_b32 s0, v31
	v_mov_b32_e32 v26, 0
	v_mov_b32_e32 v27, 0
	s_wait_alu 0xf1ff
	s_delay_alu instid0(VALU_DEP_3)
	v_cmp_eq_u32_e64 s0, s0, v31
	s_and_saveexec_b32 s1, s0
	s_cbranch_execz .LBB6_2432
; %bb.2427:                             ;   in Loop: Header=BB6_2377 Depth=1
	global_load_b64 v[24:25], v3, s[2:3] offset:24 scope:SCOPE_SYS
	s_wait_loadcnt 0x0
	global_inv scope:SCOPE_SYS
	s_clause 0x1
	global_load_b64 v[22:23], v3, s[2:3] offset:40
	global_load_b64 v[26:27], v3, s[2:3]
	s_mov_b32 s10, exec_lo
	s_wait_loadcnt 0x1
	v_and_b32_e32 v2, v23, v25
	v_and_b32_e32 v22, v22, v24
	s_delay_alu instid0(VALU_DEP_2) | instskip(NEXT) | instid1(VALU_DEP_2)
	v_mul_lo_u32 v2, 24, v2
	v_mul_lo_u32 v23, 0, v22
	v_mul_hi_u32 v28, 24, v22
	v_mul_lo_u32 v22, 24, v22
	s_delay_alu instid0(VALU_DEP_3) | instskip(SKIP_1) | instid1(VALU_DEP_2)
	v_add_nc_u32_e32 v2, v2, v23
	s_wait_loadcnt 0x0
	v_add_co_u32 v22, vcc_lo, v26, v22
	s_delay_alu instid0(VALU_DEP_2) | instskip(SKIP_1) | instid1(VALU_DEP_1)
	v_add_nc_u32_e32 v2, v2, v28
	s_wait_alu 0xfffd
	v_add_co_ci_u32_e64 v23, null, v27, v2, vcc_lo
	global_load_b64 v[22:23], v[22:23], off scope:SCOPE_SYS
	s_wait_loadcnt 0x0
	global_atomic_cmpswap_b64 v[26:27], v3, v[22:25], s[2:3] offset:24 th:TH_ATOMIC_RETURN scope:SCOPE_SYS
	s_wait_loadcnt 0x0
	global_inv scope:SCOPE_SYS
	v_cmpx_ne_u64_e64 v[26:27], v[24:25]
	s_cbranch_execz .LBB6_2431
; %bb.2428:                             ;   in Loop: Header=BB6_2377 Depth=1
	s_mov_b32 s11, 0
.LBB6_2429:                             ;   Parent Loop BB6_2377 Depth=1
                                        ; =>  This Inner Loop Header: Depth=2
	s_sleep 1
	s_clause 0x1
	global_load_b64 v[22:23], v3, s[2:3] offset:40
	global_load_b64 v[28:29], v3, s[2:3]
	v_dual_mov_b32 v24, v26 :: v_dual_mov_b32 v25, v27
	s_wait_loadcnt 0x1
	s_delay_alu instid0(VALU_DEP_1) | instskip(NEXT) | instid1(VALU_DEP_2)
	v_and_b32_e32 v2, v22, v24
	v_and_b32_e32 v22, v23, v25
	s_wait_loadcnt 0x0
	s_delay_alu instid0(VALU_DEP_2) | instskip(NEXT) | instid1(VALU_DEP_1)
	v_mad_co_u64_u32 v[26:27], null, v2, 24, v[28:29]
	v_mov_b32_e32 v2, v27
	s_delay_alu instid0(VALU_DEP_1) | instskip(NEXT) | instid1(VALU_DEP_1)
	v_mad_co_u64_u32 v[22:23], null, v22, 24, v[2:3]
	v_mov_b32_e32 v27, v22
	global_load_b64 v[22:23], v[26:27], off scope:SCOPE_SYS
	s_wait_loadcnt 0x0
	global_atomic_cmpswap_b64 v[26:27], v3, v[22:25], s[2:3] offset:24 th:TH_ATOMIC_RETURN scope:SCOPE_SYS
	s_wait_loadcnt 0x0
	global_inv scope:SCOPE_SYS
	v_cmp_eq_u64_e32 vcc_lo, v[26:27], v[24:25]
	s_wait_alu 0xfffe
	s_or_b32 s11, vcc_lo, s11
	s_wait_alu 0xfffe
	s_and_not1_b32 exec_lo, exec_lo, s11
	s_cbranch_execnz .LBB6_2429
; %bb.2430:                             ;   in Loop: Header=BB6_2377 Depth=1
	s_or_b32 exec_lo, exec_lo, s11
.LBB6_2431:                             ;   in Loop: Header=BB6_2377 Depth=1
	s_wait_alu 0xfffe
	s_or_b32 exec_lo, exec_lo, s10
.LBB6_2432:                             ;   in Loop: Header=BB6_2377 Depth=1
	s_wait_alu 0xfffe
	s_or_b32 exec_lo, exec_lo, s1
	s_clause 0x1
	global_load_b64 v[28:29], v3, s[2:3] offset:40
	global_load_b128 v[22:25], v3, s[2:3]
	v_readfirstlane_b32 s11, v27
	v_readfirstlane_b32 s10, v26
	s_mov_b32 s1, exec_lo
	s_wait_loadcnt 0x1
	s_wait_alu 0xf1ff
	v_and_b32_e32 v29, s11, v29
	v_and_b32_e32 v28, s10, v28
	s_delay_alu instid0(VALU_DEP_2) | instskip(NEXT) | instid1(VALU_DEP_2)
	v_mul_lo_u32 v2, 24, v29
	v_mul_lo_u32 v26, 0, v28
	v_mul_hi_u32 v27, 24, v28
	v_mul_lo_u32 v32, 24, v28
	s_delay_alu instid0(VALU_DEP_3) | instskip(SKIP_1) | instid1(VALU_DEP_2)
	v_add_nc_u32_e32 v2, v2, v26
	s_wait_loadcnt 0x0
	v_add_co_u32 v26, vcc_lo, v22, v32
	s_delay_alu instid0(VALU_DEP_2) | instskip(SKIP_1) | instid1(VALU_DEP_1)
	v_add_nc_u32_e32 v2, v2, v27
	s_wait_alu 0xfffd
	v_add_co_ci_u32_e64 v27, null, v23, v2, vcc_lo
	s_and_saveexec_b32 s12, s0
	s_cbranch_execz .LBB6_2434
; %bb.2433:                             ;   in Loop: Header=BB6_2377 Depth=1
	s_wait_alu 0xfffe
	v_mov_b32_e32 v2, s1
	global_store_b128 v[26:27], v[2:5], off offset:8
.LBB6_2434:                             ;   in Loop: Header=BB6_2377 Depth=1
	s_wait_alu 0xfffe
	s_or_b32 exec_lo, exec_lo, s12
	v_cmp_gt_u64_e64 s1, s[6:7], 56
	v_lshlrev_b64_e32 v[28:29], 12, v[28:29]
	v_and_b32_e32 v2, 0xffffff1f, v6
	s_and_b32 s1, s1, exec_lo
	s_delay_alu instid0(VALU_DEP_2)
	v_add_co_u32 v24, vcc_lo, v24, v28
	s_cselect_b32 s1, 0, 2
	s_wait_alu 0xfffd
	v_add_co_ci_u32_e64 v25, null, v25, v29, vcc_lo
	s_wait_alu 0xfffe
	v_or_b32_e32 v2, s1, v2
	s_lshl_b32 s12, s8, 2
	s_wait_alu 0xfffe
	s_add_co_i32 s1, s12, 28
	v_readfirstlane_b32 s12, v24
	v_readfirstlane_b32 s13, v25
	s_wait_alu 0xfffe
	v_and_or_b32 v6, 0x1e0, s1, v2
	s_clause 0x3
	global_store_b128 v30, v[6:9], s[12:13]
	global_store_b128 v30, v[10:13], s[12:13] offset:16
	global_store_b128 v30, v[14:17], s[12:13] offset:32
	;; [unrolled: 1-line block ×3, first 2 shown]
	s_and_saveexec_b32 s1, s0
	s_cbranch_execz .LBB6_2442
; %bb.2435:                             ;   in Loop: Header=BB6_2377 Depth=1
	s_clause 0x1
	global_load_b64 v[14:15], v3, s[2:3] offset:32 scope:SCOPE_SYS
	global_load_b64 v[6:7], v3, s[2:3] offset:40
	v_mov_b32_e32 v12, s10
	s_mov_b32 s12, exec_lo
	s_wait_loadcnt 0x0
	v_dual_mov_b32 v13, s11 :: v_dual_and_b32 v2, s11, v7
	v_and_b32_e32 v6, s10, v6
	s_delay_alu instid0(VALU_DEP_2) | instskip(NEXT) | instid1(VALU_DEP_2)
	v_mul_lo_u32 v2, 24, v2
	v_mul_lo_u32 v7, 0, v6
	v_mul_hi_u32 v8, 24, v6
	v_mul_lo_u32 v6, 24, v6
	s_delay_alu instid0(VALU_DEP_3) | instskip(NEXT) | instid1(VALU_DEP_2)
	v_add_nc_u32_e32 v2, v2, v7
	v_add_co_u32 v10, vcc_lo, v22, v6
	s_delay_alu instid0(VALU_DEP_2) | instskip(SKIP_1) | instid1(VALU_DEP_1)
	v_add_nc_u32_e32 v2, v2, v8
	s_wait_alu 0xfffd
	v_add_co_ci_u32_e64 v11, null, v23, v2, vcc_lo
	global_store_b64 v[10:11], v[14:15], off
	global_wb scope:SCOPE_SYS
	s_wait_storecnt 0x0
	global_atomic_cmpswap_b64 v[8:9], v3, v[12:15], s[2:3] offset:32 th:TH_ATOMIC_RETURN scope:SCOPE_SYS
	s_wait_loadcnt 0x0
	v_cmpx_ne_u64_e64 v[8:9], v[14:15]
	s_cbranch_execz .LBB6_2438
; %bb.2436:                             ;   in Loop: Header=BB6_2377 Depth=1
	s_mov_b32 s13, 0
.LBB6_2437:                             ;   Parent Loop BB6_2377 Depth=1
                                        ; =>  This Inner Loop Header: Depth=2
	v_dual_mov_b32 v6, s10 :: v_dual_mov_b32 v7, s11
	s_sleep 1
	global_store_b64 v[10:11], v[8:9], off
	global_wb scope:SCOPE_SYS
	s_wait_storecnt 0x0
	global_atomic_cmpswap_b64 v[6:7], v3, v[6:9], s[2:3] offset:32 th:TH_ATOMIC_RETURN scope:SCOPE_SYS
	s_wait_loadcnt 0x0
	v_cmp_eq_u64_e32 vcc_lo, v[6:7], v[8:9]
	v_dual_mov_b32 v9, v7 :: v_dual_mov_b32 v8, v6
	s_wait_alu 0xfffe
	s_or_b32 s13, vcc_lo, s13
	s_wait_alu 0xfffe
	s_and_not1_b32 exec_lo, exec_lo, s13
	s_cbranch_execnz .LBB6_2437
.LBB6_2438:                             ;   in Loop: Header=BB6_2377 Depth=1
	s_wait_alu 0xfffe
	s_or_b32 exec_lo, exec_lo, s12
	global_load_b64 v[6:7], v3, s[2:3] offset:16
	s_mov_b32 s13, exec_lo
	s_mov_b32 s12, exec_lo
	s_wait_alu 0xfffe
	v_mbcnt_lo_u32_b32 v2, s13, 0
	s_delay_alu instid0(VALU_DEP_1)
	v_cmpx_eq_u32_e32 0, v2
	s_cbranch_execz .LBB6_2440
; %bb.2439:                             ;   in Loop: Header=BB6_2377 Depth=1
	s_bcnt1_i32_b32 s13, s13
	s_wait_alu 0xfffe
	v_mov_b32_e32 v2, s13
	global_wb scope:SCOPE_SYS
	s_wait_loadcnt 0x0
	s_wait_storecnt 0x0
	global_atomic_add_u64 v[6:7], v[2:3], off offset:8 scope:SCOPE_SYS
.LBB6_2440:                             ;   in Loop: Header=BB6_2377 Depth=1
	s_or_b32 exec_lo, exec_lo, s12
	s_wait_loadcnt 0x0
	global_load_b64 v[8:9], v[6:7], off offset:16
	s_wait_loadcnt 0x0
	v_cmp_eq_u64_e32 vcc_lo, 0, v[8:9]
	s_cbranch_vccnz .LBB6_2442
; %bb.2441:                             ;   in Loop: Header=BB6_2377 Depth=1
	global_load_b32 v2, v[6:7], off offset:24
	s_wait_loadcnt 0x0
	v_readfirstlane_b32 s12, v2
	global_wb scope:SCOPE_SYS
	s_wait_storecnt 0x0
	global_store_b64 v[8:9], v[2:3], off scope:SCOPE_SYS
	s_and_b32 m0, s12, 0xffffff
	s_sendmsg sendmsg(MSG_INTERRUPT)
.LBB6_2442:                             ;   in Loop: Header=BB6_2377 Depth=1
	s_wait_alu 0xfffe
	s_or_b32 exec_lo, exec_lo, s1
	v_add_co_u32 v6, vcc_lo, v24, v30
	s_wait_alu 0xfffd
	v_add_co_ci_u32_e64 v7, null, 0, v25, vcc_lo
	s_branch .LBB6_2446
.LBB6_2443:                             ;   in Loop: Header=BB6_2446 Depth=2
	s_wait_alu 0xfffe
	s_or_b32 exec_lo, exec_lo, s1
	s_delay_alu instid0(VALU_DEP_1)
	v_readfirstlane_b32 s1, v2
	s_cmp_eq_u32 s1, 0
	s_cbranch_scc1 .LBB6_2445
; %bb.2444:                             ;   in Loop: Header=BB6_2446 Depth=2
	s_sleep 1
	s_cbranch_execnz .LBB6_2446
	s_branch .LBB6_2448
.LBB6_2445:                             ;   in Loop: Header=BB6_2377 Depth=1
	s_branch .LBB6_2448
.LBB6_2446:                             ;   Parent Loop BB6_2377 Depth=1
                                        ; =>  This Inner Loop Header: Depth=2
	v_mov_b32_e32 v2, 1
	s_and_saveexec_b32 s1, s0
	s_cbranch_execz .LBB6_2443
; %bb.2447:                             ;   in Loop: Header=BB6_2446 Depth=2
	global_load_b32 v2, v[26:27], off offset:20 scope:SCOPE_SYS
	s_wait_loadcnt 0x0
	global_inv scope:SCOPE_SYS
	v_and_b32_e32 v2, 1, v2
	s_branch .LBB6_2443
.LBB6_2448:                             ;   in Loop: Header=BB6_2377 Depth=1
	global_load_b128 v[6:9], v[6:7], off
	s_and_saveexec_b32 s12, s0
	s_cbranch_execz .LBB6_2376
; %bb.2449:                             ;   in Loop: Header=BB6_2377 Depth=1
	s_wait_loadcnt 0x0
	s_clause 0x2
	global_load_b64 v[8:9], v3, s[2:3] offset:40
	global_load_b64 v[16:17], v3, s[2:3] offset:24 scope:SCOPE_SYS
	global_load_b64 v[10:11], v3, s[2:3]
	s_wait_loadcnt 0x2
	v_readfirstlane_b32 s14, v8
	v_readfirstlane_b32 s15, v9
	s_add_nc_u64 s[0:1], s[14:15], 1
	s_wait_alu 0xfffe
	s_add_nc_u64 s[10:11], s[0:1], s[10:11]
	s_wait_alu 0xfffe
	s_cmp_eq_u64 s[10:11], 0
	s_cselect_b32 s1, s1, s11
	s_cselect_b32 s0, s0, s10
	s_wait_alu 0xfffe
	v_dual_mov_b32 v15, s1 :: v_dual_mov_b32 v14, s0
	s_and_b64 s[10:11], s[0:1], s[14:15]
	s_wait_alu 0xfffe
	s_mul_u64 s[10:11], s[10:11], 24
	s_wait_loadcnt 0x0
	s_wait_alu 0xfffe
	v_add_co_u32 v12, vcc_lo, v10, s10
	s_wait_alu 0xfffd
	v_add_co_ci_u32_e64 v13, null, s11, v11, vcc_lo
	global_store_b64 v[12:13], v[16:17], off
	global_wb scope:SCOPE_SYS
	s_wait_storecnt 0x0
	global_atomic_cmpswap_b64 v[10:11], v3, v[14:17], s[2:3] offset:24 th:TH_ATOMIC_RETURN scope:SCOPE_SYS
	s_wait_loadcnt 0x0
	v_cmp_ne_u64_e32 vcc_lo, v[10:11], v[16:17]
	s_and_b32 exec_lo, exec_lo, vcc_lo
	s_cbranch_execz .LBB6_2376
; %bb.2450:                             ;   in Loop: Header=BB6_2377 Depth=1
	s_mov_b32 s10, 0
.LBB6_2451:                             ;   Parent Loop BB6_2377 Depth=1
                                        ; =>  This Inner Loop Header: Depth=2
	v_dual_mov_b32 v8, s0 :: v_dual_mov_b32 v9, s1
	s_sleep 1
	global_store_b64 v[12:13], v[10:11], off
	global_wb scope:SCOPE_SYS
	s_wait_storecnt 0x0
	global_atomic_cmpswap_b64 v[8:9], v3, v[8:11], s[2:3] offset:24 th:TH_ATOMIC_RETURN scope:SCOPE_SYS
	s_wait_loadcnt 0x0
	v_cmp_eq_u64_e32 vcc_lo, v[8:9], v[10:11]
	v_dual_mov_b32 v11, v9 :: v_dual_mov_b32 v10, v8
	s_wait_alu 0xfffe
	s_or_b32 s10, vcc_lo, s10
	s_wait_alu 0xfffe
	s_and_not1_b32 exec_lo, exec_lo, s10
	s_cbranch_execnz .LBB6_2451
	s_branch .LBB6_2376
.LBB6_2452:
	s_mov_b32 s0, 0
	s_branch .LBB6_2454
.LBB6_2453:
	s_mov_b32 s0, -1
.LBB6_2454:
	s_wait_alu 0xfffe
	s_and_b32 vcc_lo, exec_lo, s0
	s_wait_alu 0xfffe
	s_cbranch_vccz .LBB6_2482
; %bb.2455:
	v_readfirstlane_b32 s0, v31
	s_wait_loadcnt 0x0
	v_mov_b32_e32 v8, 0
	v_mov_b32_e32 v9, 0
	s_wait_alu 0xf1ff
	v_cmp_eq_u32_e64 s0, s0, v31
	s_and_saveexec_b32 s1, s0
	s_cbranch_execz .LBB6_2461
; %bb.2456:
	v_mov_b32_e32 v2, 0
	s_mov_b32 s4, exec_lo
	global_load_b64 v[5:6], v2, s[2:3] offset:24 scope:SCOPE_SYS
	s_wait_loadcnt 0x0
	global_inv scope:SCOPE_SYS
	s_clause 0x1
	global_load_b64 v[3:4], v2, s[2:3] offset:40
	global_load_b64 v[7:8], v2, s[2:3]
	s_wait_loadcnt 0x1
	v_and_b32_e32 v4, v4, v6
	v_and_b32_e32 v3, v3, v5
	s_delay_alu instid0(VALU_DEP_2) | instskip(NEXT) | instid1(VALU_DEP_2)
	v_mul_lo_u32 v4, 24, v4
	v_mul_lo_u32 v9, 0, v3
	v_mul_hi_u32 v10, 24, v3
	v_mul_lo_u32 v3, 24, v3
	s_delay_alu instid0(VALU_DEP_3) | instskip(SKIP_1) | instid1(VALU_DEP_2)
	v_add_nc_u32_e32 v4, v4, v9
	s_wait_loadcnt 0x0
	v_add_co_u32 v3, vcc_lo, v7, v3
	s_delay_alu instid0(VALU_DEP_2) | instskip(SKIP_1) | instid1(VALU_DEP_1)
	v_add_nc_u32_e32 v4, v4, v10
	s_wait_alu 0xfffd
	v_add_co_ci_u32_e64 v4, null, v8, v4, vcc_lo
	global_load_b64 v[3:4], v[3:4], off scope:SCOPE_SYS
	s_wait_loadcnt 0x0
	global_atomic_cmpswap_b64 v[8:9], v2, v[3:6], s[2:3] offset:24 th:TH_ATOMIC_RETURN scope:SCOPE_SYS
	s_wait_loadcnt 0x0
	global_inv scope:SCOPE_SYS
	v_cmpx_ne_u64_e64 v[8:9], v[5:6]
	s_cbranch_execz .LBB6_2460
; %bb.2457:
	s_mov_b32 s5, 0
.LBB6_2458:                             ; =>This Inner Loop Header: Depth=1
	s_sleep 1
	s_clause 0x1
	global_load_b64 v[3:4], v2, s[2:3] offset:40
	global_load_b64 v[10:11], v2, s[2:3]
	v_dual_mov_b32 v5, v8 :: v_dual_mov_b32 v6, v9
	s_wait_loadcnt 0x1
	s_delay_alu instid0(VALU_DEP_1) | instskip(NEXT) | instid1(VALU_DEP_2)
	v_and_b32_e32 v3, v3, v5
	v_and_b32_e32 v4, v4, v6
	s_wait_loadcnt 0x0
	s_delay_alu instid0(VALU_DEP_2) | instskip(NEXT) | instid1(VALU_DEP_1)
	v_mad_co_u64_u32 v[7:8], null, v3, 24, v[10:11]
	v_mov_b32_e32 v3, v8
	s_delay_alu instid0(VALU_DEP_1) | instskip(NEXT) | instid1(VALU_DEP_1)
	v_mad_co_u64_u32 v[3:4], null, v4, 24, v[3:4]
	v_mov_b32_e32 v8, v3
	global_load_b64 v[3:4], v[7:8], off scope:SCOPE_SYS
	s_wait_loadcnt 0x0
	global_atomic_cmpswap_b64 v[8:9], v2, v[3:6], s[2:3] offset:24 th:TH_ATOMIC_RETURN scope:SCOPE_SYS
	s_wait_loadcnt 0x0
	global_inv scope:SCOPE_SYS
	v_cmp_eq_u64_e32 vcc_lo, v[8:9], v[5:6]
	s_wait_alu 0xfffe
	s_or_b32 s5, vcc_lo, s5
	s_wait_alu 0xfffe
	s_and_not1_b32 exec_lo, exec_lo, s5
	s_cbranch_execnz .LBB6_2458
; %bb.2459:
	s_or_b32 exec_lo, exec_lo, s5
.LBB6_2460:
	s_wait_alu 0xfffe
	s_or_b32 exec_lo, exec_lo, s4
.LBB6_2461:
	s_wait_alu 0xfffe
	s_or_b32 exec_lo, exec_lo, s1
	v_readfirstlane_b32 s5, v9
	v_mov_b32_e32 v2, 0
	v_readfirstlane_b32 s4, v8
	s_mov_b32 s1, exec_lo
	s_clause 0x1
	global_load_b64 v[10:11], v2, s[2:3] offset:40
	global_load_b128 v[4:7], v2, s[2:3]
	s_wait_loadcnt 0x1
	s_wait_alu 0xf1ff
	v_and_b32_e32 v11, s5, v11
	v_and_b32_e32 v10, s4, v10
	s_delay_alu instid0(VALU_DEP_2) | instskip(NEXT) | instid1(VALU_DEP_2)
	v_mul_lo_u32 v3, 24, v11
	v_mul_lo_u32 v8, 0, v10
	v_mul_hi_u32 v9, 24, v10
	v_mul_lo_u32 v12, 24, v10
	s_delay_alu instid0(VALU_DEP_3) | instskip(SKIP_1) | instid1(VALU_DEP_2)
	v_add_nc_u32_e32 v3, v3, v8
	s_wait_loadcnt 0x0
	v_add_co_u32 v8, vcc_lo, v4, v12
	s_delay_alu instid0(VALU_DEP_2) | instskip(SKIP_1) | instid1(VALU_DEP_1)
	v_add_nc_u32_e32 v3, v3, v9
	s_wait_alu 0xfffd
	v_add_co_ci_u32_e64 v9, null, v5, v3, vcc_lo
	s_and_saveexec_b32 s6, s0
	s_cbranch_execz .LBB6_2463
; %bb.2462:
	s_wait_alu 0xfffe
	v_dual_mov_b32 v12, s1 :: v_dual_mov_b32 v13, v2
	v_dual_mov_b32 v14, 2 :: v_dual_mov_b32 v15, 1
	global_store_b128 v[8:9], v[12:15], off offset:8
.LBB6_2463:
	s_wait_alu 0xfffe
	s_or_b32 exec_lo, exec_lo, s6
	v_lshlrev_b64_e32 v[10:11], 12, v[10:11]
	s_mov_b32 s8, 0
	v_and_or_b32 v0, 0xffffff1d, v0, 34
	s_wait_alu 0xfffe
	s_mov_b32 s11, s8
	s_mov_b32 s9, s8
	;; [unrolled: 1-line block ×3, first 2 shown]
	v_add_co_u32 v6, vcc_lo, v6, v10
	s_wait_alu 0xfffd
	v_add_co_ci_u32_e64 v7, null, v7, v11, vcc_lo
	v_mov_b32_e32 v3, v2
	s_delay_alu instid0(VALU_DEP_3)
	v_readfirstlane_b32 s6, v6
	s_wait_alu 0xfffe
	v_dual_mov_b32 v13, s11 :: v_dual_mov_b32 v10, s8
	v_readfirstlane_b32 s7, v7
	v_dual_mov_b32 v12, s10 :: v_dual_mov_b32 v11, s9
	s_clause 0x3
	global_store_b128 v30, v[0:3], s[6:7]
	global_store_b128 v30, v[10:13], s[6:7] offset:16
	global_store_b128 v30, v[10:13], s[6:7] offset:32
	;; [unrolled: 1-line block ×3, first 2 shown]
	s_and_saveexec_b32 s1, s0
	s_cbranch_execz .LBB6_2471
; %bb.2464:
	v_mov_b32_e32 v6, 0
	s_mov_b32 s6, exec_lo
	s_clause 0x1
	global_load_b64 v[12:13], v6, s[2:3] offset:32 scope:SCOPE_SYS
	global_load_b64 v[0:1], v6, s[2:3] offset:40
	v_dual_mov_b32 v11, s5 :: v_dual_mov_b32 v10, s4
	s_wait_loadcnt 0x0
	v_and_b32_e32 v1, s5, v1
	v_and_b32_e32 v0, s4, v0
	s_delay_alu instid0(VALU_DEP_2) | instskip(NEXT) | instid1(VALU_DEP_2)
	v_mul_lo_u32 v1, 24, v1
	v_mul_lo_u32 v2, 0, v0
	v_mul_hi_u32 v3, 24, v0
	v_mul_lo_u32 v0, 24, v0
	s_delay_alu instid0(VALU_DEP_3) | instskip(NEXT) | instid1(VALU_DEP_2)
	v_add_nc_u32_e32 v1, v1, v2
	v_add_co_u32 v4, vcc_lo, v4, v0
	s_delay_alu instid0(VALU_DEP_2) | instskip(SKIP_1) | instid1(VALU_DEP_1)
	v_add_nc_u32_e32 v1, v1, v3
	s_wait_alu 0xfffd
	v_add_co_ci_u32_e64 v5, null, v5, v1, vcc_lo
	global_store_b64 v[4:5], v[12:13], off
	global_wb scope:SCOPE_SYS
	s_wait_storecnt 0x0
	global_atomic_cmpswap_b64 v[2:3], v6, v[10:13], s[2:3] offset:32 th:TH_ATOMIC_RETURN scope:SCOPE_SYS
	s_wait_loadcnt 0x0
	v_cmpx_ne_u64_e64 v[2:3], v[12:13]
	s_cbranch_execz .LBB6_2467
; %bb.2465:
	s_mov_b32 s7, 0
.LBB6_2466:                             ; =>This Inner Loop Header: Depth=1
	v_dual_mov_b32 v0, s4 :: v_dual_mov_b32 v1, s5
	s_sleep 1
	global_store_b64 v[4:5], v[2:3], off
	global_wb scope:SCOPE_SYS
	s_wait_storecnt 0x0
	global_atomic_cmpswap_b64 v[0:1], v6, v[0:3], s[2:3] offset:32 th:TH_ATOMIC_RETURN scope:SCOPE_SYS
	s_wait_loadcnt 0x0
	v_cmp_eq_u64_e32 vcc_lo, v[0:1], v[2:3]
	v_dual_mov_b32 v3, v1 :: v_dual_mov_b32 v2, v0
	s_wait_alu 0xfffe
	s_or_b32 s7, vcc_lo, s7
	s_wait_alu 0xfffe
	s_and_not1_b32 exec_lo, exec_lo, s7
	s_cbranch_execnz .LBB6_2466
.LBB6_2467:
	s_wait_alu 0xfffe
	s_or_b32 exec_lo, exec_lo, s6
	v_mov_b32_e32 v3, 0
	s_mov_b32 s7, exec_lo
	s_mov_b32 s6, exec_lo
	s_wait_alu 0xfffe
	v_mbcnt_lo_u32_b32 v2, s7, 0
	global_load_b64 v[0:1], v3, s[2:3] offset:16
	v_cmpx_eq_u32_e32 0, v2
	s_cbranch_execz .LBB6_2469
; %bb.2468:
	s_bcnt1_i32_b32 s7, s7
	s_wait_alu 0xfffe
	v_mov_b32_e32 v2, s7
	global_wb scope:SCOPE_SYS
	s_wait_loadcnt 0x0
	s_wait_storecnt 0x0
	global_atomic_add_u64 v[0:1], v[2:3], off offset:8 scope:SCOPE_SYS
.LBB6_2469:
	s_or_b32 exec_lo, exec_lo, s6
	s_wait_loadcnt 0x0
	global_load_b64 v[2:3], v[0:1], off offset:16
	s_wait_loadcnt 0x0
	v_cmp_eq_u64_e32 vcc_lo, 0, v[2:3]
	s_cbranch_vccnz .LBB6_2471
; %bb.2470:
	global_load_b32 v0, v[0:1], off offset:24
	v_mov_b32_e32 v1, 0
	s_wait_loadcnt 0x0
	v_readfirstlane_b32 s6, v0
	global_wb scope:SCOPE_SYS
	s_wait_storecnt 0x0
	global_store_b64 v[2:3], v[0:1], off scope:SCOPE_SYS
	s_and_b32 m0, s6, 0xffffff
	s_sendmsg sendmsg(MSG_INTERRUPT)
.LBB6_2471:
	s_wait_alu 0xfffe
	s_or_b32 exec_lo, exec_lo, s1
	s_branch .LBB6_2475
.LBB6_2472:                             ;   in Loop: Header=BB6_2475 Depth=1
	s_wait_alu 0xfffe
	s_or_b32 exec_lo, exec_lo, s1
	s_delay_alu instid0(VALU_DEP_1)
	v_readfirstlane_b32 s1, v0
	s_cmp_eq_u32 s1, 0
	s_cbranch_scc1 .LBB6_2474
; %bb.2473:                             ;   in Loop: Header=BB6_2475 Depth=1
	s_sleep 1
	s_cbranch_execnz .LBB6_2475
	s_branch .LBB6_2477
.LBB6_2474:
	s_branch .LBB6_2477
.LBB6_2475:                             ; =>This Inner Loop Header: Depth=1
	v_mov_b32_e32 v0, 1
	s_and_saveexec_b32 s1, s0
	s_cbranch_execz .LBB6_2472
; %bb.2476:                             ;   in Loop: Header=BB6_2475 Depth=1
	global_load_b32 v0, v[8:9], off offset:20 scope:SCOPE_SYS
	s_wait_loadcnt 0x0
	global_inv scope:SCOPE_SYS
	v_and_b32_e32 v0, 1, v0
	s_branch .LBB6_2472
.LBB6_2477:
	s_and_saveexec_b32 s6, s0
	s_cbranch_execz .LBB6_2481
; %bb.2478:
	v_mov_b32_e32 v6, 0
	s_clause 0x2
	global_load_b64 v[0:1], v6, s[2:3] offset:40
	global_load_b64 v[9:10], v6, s[2:3] offset:24 scope:SCOPE_SYS
	global_load_b64 v[2:3], v6, s[2:3]
	s_wait_loadcnt 0x2
	v_readfirstlane_b32 s8, v0
	v_readfirstlane_b32 s9, v1
	s_add_nc_u64 s[0:1], s[8:9], 1
	s_wait_alu 0xfffe
	s_add_nc_u64 s[4:5], s[0:1], s[4:5]
	s_wait_alu 0xfffe
	s_cmp_eq_u64 s[4:5], 0
	s_cselect_b32 s1, s1, s5
	s_cselect_b32 s0, s0, s4
	s_wait_alu 0xfffe
	v_mov_b32_e32 v8, s1
	s_and_b64 s[4:5], s[0:1], s[8:9]
	v_mov_b32_e32 v7, s0
	s_wait_alu 0xfffe
	s_mul_u64 s[4:5], s[4:5], 24
	s_wait_loadcnt 0x0
	s_wait_alu 0xfffe
	v_add_co_u32 v4, vcc_lo, v2, s4
	s_wait_alu 0xfffd
	v_add_co_ci_u32_e64 v5, null, s5, v3, vcc_lo
	global_store_b64 v[4:5], v[9:10], off
	global_wb scope:SCOPE_SYS
	s_wait_storecnt 0x0
	global_atomic_cmpswap_b64 v[2:3], v6, v[7:10], s[2:3] offset:24 th:TH_ATOMIC_RETURN scope:SCOPE_SYS
	s_wait_loadcnt 0x0
	v_cmp_ne_u64_e32 vcc_lo, v[2:3], v[9:10]
	s_and_b32 exec_lo, exec_lo, vcc_lo
	s_cbranch_execz .LBB6_2481
; %bb.2479:
	s_mov_b32 s4, 0
.LBB6_2480:                             ; =>This Inner Loop Header: Depth=1
	v_dual_mov_b32 v0, s0 :: v_dual_mov_b32 v1, s1
	s_sleep 1
	global_store_b64 v[4:5], v[2:3], off
	global_wb scope:SCOPE_SYS
	s_wait_storecnt 0x0
	global_atomic_cmpswap_b64 v[0:1], v6, v[0:3], s[2:3] offset:24 th:TH_ATOMIC_RETURN scope:SCOPE_SYS
	s_wait_loadcnt 0x0
	v_cmp_eq_u64_e32 vcc_lo, v[0:1], v[2:3]
	v_dual_mov_b32 v3, v1 :: v_dual_mov_b32 v2, v0
	s_wait_alu 0xfffe
	s_or_b32 s4, vcc_lo, s4
	s_wait_alu 0xfffe
	s_and_not1_b32 exec_lo, exec_lo, s4
	s_cbranch_execnz .LBB6_2480
.LBB6_2481:
	s_wait_alu 0xfffe
	s_or_b32 exec_lo, exec_lo, s6
.LBB6_2482:
	s_getpc_b64 s[0:1]
	s_wait_alu 0xfffe
	s_sext_i32_i16 s1, s1
	s_add_co_u32 s0, s0, .str.29@rel32@lo+12
	s_wait_alu 0xfffe
	s_add_co_ci_u32 s1, s1, .str.29@rel32@hi+24
	s_getpc_b64 s[2:3]
	s_wait_alu 0xfffe
	s_sext_i32_i16 s3, s3
	s_add_co_u32 s2, s2, .str.19@rel32@lo+12
	s_wait_alu 0xfffe
	s_add_co_ci_u32 s3, s3, .str.19@rel32@hi+24
	s_getpc_b64 s[4:5]
	s_wait_alu 0xfffe
	s_sext_i32_i16 s5, s5
	s_add_co_u32 s4, s4, __PRETTY_FUNCTION__._ZN7VecsMemIjLi8192EE5fetchEi@rel32@lo+12
	s_wait_alu 0xfffe
	s_add_co_ci_u32 s5, s5, __PRETTY_FUNCTION__._ZN7VecsMemIjLi8192EE5fetchEi@rel32@hi+24
	s_wait_loadcnt 0x0
	v_dual_mov_b32 v0, s0 :: v_dual_mov_b32 v1, s1
	v_dual_mov_b32 v2, s2 :: v_dual_mov_b32 v3, s3
	v_dual_mov_b32 v4, 12 :: v_dual_mov_b32 v5, s4
	s_wait_alu 0xfffe
	v_mov_b32_e32 v6, s5
	s_getpc_b64 s[6:7]
	s_wait_alu 0xfffe
	s_sext_i32_i16 s7, s7
	s_add_co_u32 s6, s6, __assert_fail@rel32@lo+12
	s_wait_alu 0xfffe
	s_add_co_ci_u32 s7, s7, __assert_fail@rel32@hi+24
	s_mov_b64 s[8:9], s[52:53]
	s_wait_alu 0xfffe
	s_swappc_b64 s[30:31], s[6:7]
	s_or_b32 s23, s23, exec_lo
.LBB6_2483:
	s_wait_alu 0xfffe
	s_or_b32 exec_lo, exec_lo, s17
	s_delay_alu instid0(SALU_CYCLE_1)
	s_and_not1_b32 s0, s19, exec_lo
	s_and_b32 s1, s23, exec_lo
	s_wait_alu 0xfffe
	s_or_b32 s19, s0, s1
.LBB6_2484:
	s_or_b32 exec_lo, exec_lo, s27
	s_delay_alu instid0(SALU_CYCLE_1)
	s_and_not1_b32 s0, s18, exec_lo
	s_wait_alu 0xfffe
	s_and_b32 s1, s19, exec_lo
	s_wait_alu 0xfffe
	s_or_b32 s18, s0, s1
.LBB6_2485:
	s_wait_alu 0xfffe
	s_or_b32 exec_lo, exec_lo, s26
	s_and_saveexec_b32 s0, s22
	s_wait_alu 0xfffe
	s_xor_b32 s17, exec_lo, s0
	s_cbranch_execz .LBB6_2621
; %bb.2486:
	s_load_b64 s[2:3], s[52:53], 0x50
	v_mbcnt_lo_u32_b32 v31, -1, 0
	v_mov_b32_e32 v6, 0
	v_mov_b32_e32 v7, 0
	s_delay_alu instid0(VALU_DEP_3) | instskip(SKIP_1) | instid1(VALU_DEP_1)
	v_readfirstlane_b32 s0, v31
	s_wait_alu 0xf1ff
	v_cmp_eq_u32_e64 s0, s0, v31
	s_and_saveexec_b32 s1, s0
	s_cbranch_execz .LBB6_2492
; %bb.2487:
	v_mov_b32_e32 v0, 0
	s_mov_b32 s4, exec_lo
	s_wait_kmcnt 0x0
	global_load_b64 v[3:4], v0, s[2:3] offset:24 scope:SCOPE_SYS
	s_wait_loadcnt 0x0
	global_inv scope:SCOPE_SYS
	s_clause 0x1
	global_load_b64 v[1:2], v0, s[2:3] offset:40
	global_load_b64 v[5:6], v0, s[2:3]
	s_wait_loadcnt 0x1
	v_and_b32_e32 v2, v2, v4
	v_and_b32_e32 v1, v1, v3
	s_delay_alu instid0(VALU_DEP_2) | instskip(NEXT) | instid1(VALU_DEP_2)
	v_mul_lo_u32 v2, 24, v2
	v_mul_lo_u32 v7, 0, v1
	v_mul_hi_u32 v8, 24, v1
	v_mul_lo_u32 v1, 24, v1
	s_delay_alu instid0(VALU_DEP_3) | instskip(SKIP_1) | instid1(VALU_DEP_2)
	v_add_nc_u32_e32 v2, v2, v7
	s_wait_loadcnt 0x0
	v_add_co_u32 v1, vcc_lo, v5, v1
	s_delay_alu instid0(VALU_DEP_2) | instskip(SKIP_1) | instid1(VALU_DEP_1)
	v_add_nc_u32_e32 v2, v2, v8
	s_wait_alu 0xfffd
	v_add_co_ci_u32_e64 v2, null, v6, v2, vcc_lo
	global_load_b64 v[1:2], v[1:2], off scope:SCOPE_SYS
	s_wait_loadcnt 0x0
	global_atomic_cmpswap_b64 v[6:7], v0, v[1:4], s[2:3] offset:24 th:TH_ATOMIC_RETURN scope:SCOPE_SYS
	s_wait_loadcnt 0x0
	global_inv scope:SCOPE_SYS
	v_cmpx_ne_u64_e64 v[6:7], v[3:4]
	s_cbranch_execz .LBB6_2491
; %bb.2488:
	s_mov_b32 s5, 0
.LBB6_2489:                             ; =>This Inner Loop Header: Depth=1
	s_sleep 1
	s_clause 0x1
	global_load_b64 v[1:2], v0, s[2:3] offset:40
	global_load_b64 v[8:9], v0, s[2:3]
	v_dual_mov_b32 v3, v6 :: v_dual_mov_b32 v4, v7
	s_wait_loadcnt 0x1
	s_delay_alu instid0(VALU_DEP_1) | instskip(NEXT) | instid1(VALU_DEP_2)
	v_and_b32_e32 v1, v1, v3
	v_and_b32_e32 v2, v2, v4
	s_wait_loadcnt 0x0
	s_delay_alu instid0(VALU_DEP_2) | instskip(NEXT) | instid1(VALU_DEP_1)
	v_mad_co_u64_u32 v[5:6], null, v1, 24, v[8:9]
	v_mov_b32_e32 v1, v6
	s_delay_alu instid0(VALU_DEP_1) | instskip(NEXT) | instid1(VALU_DEP_1)
	v_mad_co_u64_u32 v[1:2], null, v2, 24, v[1:2]
	v_mov_b32_e32 v6, v1
	global_load_b64 v[1:2], v[5:6], off scope:SCOPE_SYS
	s_wait_loadcnt 0x0
	global_atomic_cmpswap_b64 v[6:7], v0, v[1:4], s[2:3] offset:24 th:TH_ATOMIC_RETURN scope:SCOPE_SYS
	s_wait_loadcnt 0x0
	global_inv scope:SCOPE_SYS
	v_cmp_eq_u64_e32 vcc_lo, v[6:7], v[3:4]
	s_wait_alu 0xfffe
	s_or_b32 s5, vcc_lo, s5
	s_wait_alu 0xfffe
	s_and_not1_b32 exec_lo, exec_lo, s5
	s_cbranch_execnz .LBB6_2489
; %bb.2490:
	s_or_b32 exec_lo, exec_lo, s5
.LBB6_2491:
	s_wait_alu 0xfffe
	s_or_b32 exec_lo, exec_lo, s4
.LBB6_2492:
	s_wait_alu 0xfffe
	s_or_b32 exec_lo, exec_lo, s1
	v_readfirstlane_b32 s4, v6
	v_mov_b32_e32 v5, 0
	v_readfirstlane_b32 s5, v7
	s_mov_b32 s1, exec_lo
	s_wait_kmcnt 0x0
	s_clause 0x1
	global_load_b64 v[8:9], v5, s[2:3] offset:40
	global_load_b128 v[0:3], v5, s[2:3]
	s_wait_loadcnt 0x1
	s_wait_alu 0xf1ff
	v_and_b32_e32 v11, s5, v9
	s_wait_dscnt 0x1
	v_and_b32_e32 v10, s4, v8
	s_delay_alu instid0(VALU_DEP_2) | instskip(NEXT) | instid1(VALU_DEP_2)
	v_mul_lo_u32 v4, 24, v11
	v_mul_lo_u32 v6, 0, v10
	v_mul_hi_u32 v7, 24, v10
	v_mul_lo_u32 v8, 24, v10
	s_delay_alu instid0(VALU_DEP_3) | instskip(SKIP_1) | instid1(VALU_DEP_2)
	v_add_nc_u32_e32 v4, v4, v6
	s_wait_loadcnt 0x0
	v_add_co_u32 v8, vcc_lo, v0, v8
	s_delay_alu instid0(VALU_DEP_2) | instskip(SKIP_1) | instid1(VALU_DEP_1)
	v_add_nc_u32_e32 v4, v4, v7
	s_wait_alu 0xfffd
	v_add_co_ci_u32_e64 v9, null, v1, v4, vcc_lo
	s_and_saveexec_b32 s6, s0
	s_cbranch_execz .LBB6_2494
; %bb.2493:
	s_wait_alu 0xfffe
	v_dual_mov_b32 v4, s1 :: v_dual_mov_b32 v7, 1
	v_mov_b32_e32 v6, 2
	global_store_b128 v[8:9], v[4:7], off offset:8
.LBB6_2494:
	s_wait_alu 0xfffe
	s_or_b32 exec_lo, exec_lo, s6
	v_lshlrev_b64_e32 v[10:11], 12, v[10:11]
	v_dual_mov_b32 v7, v5 :: v_dual_lshlrev_b32 v30, 6, v31
	s_mov_b32 s8, 0
	s_wait_alu 0xfffe
	s_mov_b32 s11, s8
	s_delay_alu instid0(VALU_DEP_2)
	v_add_co_u32 v2, vcc_lo, v2, v10
	s_wait_alu 0xfffd
	v_add_co_ci_u32_e64 v3, null, v3, v11, vcc_lo
	s_mov_b32 s9, s8
	v_add_co_u32 v10, vcc_lo, v2, v30
	s_mov_b32 s10, s8
	s_wait_alu 0xfffe
	v_dual_mov_b32 v4, 33 :: v_dual_mov_b32 v15, s11
	v_dual_mov_b32 v6, v5 :: v_dual_mov_b32 v13, s9
	v_readfirstlane_b32 s6, v2
	v_readfirstlane_b32 s7, v3
	s_wait_alu 0xfffd
	v_add_co_ci_u32_e64 v11, null, 0, v3, vcc_lo
	v_mov_b32_e32 v14, s10
	v_mov_b32_e32 v12, s8
	s_clause 0x3
	global_store_b128 v30, v[4:7], s[6:7]
	global_store_b128 v30, v[12:15], s[6:7] offset:16
	global_store_b128 v30, v[12:15], s[6:7] offset:32
	global_store_b128 v30, v[12:15], s[6:7] offset:48
	s_and_saveexec_b32 s1, s0
	s_cbranch_execz .LBB6_2502
; %bb.2495:
	v_mov_b32_e32 v6, 0
	s_mov_b32 s6, exec_lo
	s_clause 0x1
	global_load_b64 v[14:15], v6, s[2:3] offset:32 scope:SCOPE_SYS
	global_load_b64 v[2:3], v6, s[2:3] offset:40
	v_dual_mov_b32 v13, s5 :: v_dual_mov_b32 v12, s4
	s_wait_loadcnt 0x0
	v_and_b32_e32 v3, s5, v3
	v_and_b32_e32 v2, s4, v2
	s_delay_alu instid0(VALU_DEP_2) | instskip(NEXT) | instid1(VALU_DEP_2)
	v_mul_lo_u32 v3, 24, v3
	v_mul_lo_u32 v4, 0, v2
	v_mul_hi_u32 v5, 24, v2
	v_mul_lo_u32 v2, 24, v2
	s_delay_alu instid0(VALU_DEP_3) | instskip(NEXT) | instid1(VALU_DEP_2)
	v_add_nc_u32_e32 v3, v3, v4
	v_add_co_u32 v4, vcc_lo, v0, v2
	s_delay_alu instid0(VALU_DEP_2) | instskip(SKIP_1) | instid1(VALU_DEP_1)
	v_add_nc_u32_e32 v3, v3, v5
	s_wait_alu 0xfffd
	v_add_co_ci_u32_e64 v5, null, v1, v3, vcc_lo
	global_store_b64 v[4:5], v[14:15], off
	global_wb scope:SCOPE_SYS
	s_wait_storecnt 0x0
	global_atomic_cmpswap_b64 v[2:3], v6, v[12:15], s[2:3] offset:32 th:TH_ATOMIC_RETURN scope:SCOPE_SYS
	s_wait_loadcnt 0x0
	v_cmpx_ne_u64_e64 v[2:3], v[14:15]
	s_cbranch_execz .LBB6_2498
; %bb.2496:
	s_mov_b32 s7, 0
.LBB6_2497:                             ; =>This Inner Loop Header: Depth=1
	v_dual_mov_b32 v0, s4 :: v_dual_mov_b32 v1, s5
	s_sleep 1
	global_store_b64 v[4:5], v[2:3], off
	global_wb scope:SCOPE_SYS
	s_wait_storecnt 0x0
	global_atomic_cmpswap_b64 v[0:1], v6, v[0:3], s[2:3] offset:32 th:TH_ATOMIC_RETURN scope:SCOPE_SYS
	s_wait_loadcnt 0x0
	v_cmp_eq_u64_e32 vcc_lo, v[0:1], v[2:3]
	v_dual_mov_b32 v3, v1 :: v_dual_mov_b32 v2, v0
	s_wait_alu 0xfffe
	s_or_b32 s7, vcc_lo, s7
	s_wait_alu 0xfffe
	s_and_not1_b32 exec_lo, exec_lo, s7
	s_cbranch_execnz .LBB6_2497
.LBB6_2498:
	s_wait_alu 0xfffe
	s_or_b32 exec_lo, exec_lo, s6
	v_mov_b32_e32 v3, 0
	s_mov_b32 s7, exec_lo
	s_mov_b32 s6, exec_lo
	s_wait_alu 0xfffe
	v_mbcnt_lo_u32_b32 v2, s7, 0
	global_load_b64 v[0:1], v3, s[2:3] offset:16
	v_cmpx_eq_u32_e32 0, v2
	s_cbranch_execz .LBB6_2500
; %bb.2499:
	s_bcnt1_i32_b32 s7, s7
	s_wait_alu 0xfffe
	v_mov_b32_e32 v2, s7
	global_wb scope:SCOPE_SYS
	s_wait_loadcnt 0x0
	s_wait_storecnt 0x0
	global_atomic_add_u64 v[0:1], v[2:3], off offset:8 scope:SCOPE_SYS
.LBB6_2500:
	s_or_b32 exec_lo, exec_lo, s6
	s_wait_loadcnt 0x0
	global_load_b64 v[2:3], v[0:1], off offset:16
	s_wait_loadcnt 0x0
	v_cmp_eq_u64_e32 vcc_lo, 0, v[2:3]
	s_cbranch_vccnz .LBB6_2502
; %bb.2501:
	global_load_b32 v0, v[0:1], off offset:24
	v_mov_b32_e32 v1, 0
	s_wait_loadcnt 0x0
	v_readfirstlane_b32 s6, v0
	global_wb scope:SCOPE_SYS
	s_wait_storecnt 0x0
	global_store_b64 v[2:3], v[0:1], off scope:SCOPE_SYS
	s_and_b32 m0, s6, 0xffffff
	s_sendmsg sendmsg(MSG_INTERRUPT)
.LBB6_2502:
	s_wait_alu 0xfffe
	s_or_b32 exec_lo, exec_lo, s1
	s_branch .LBB6_2506
.LBB6_2503:                             ;   in Loop: Header=BB6_2506 Depth=1
	s_wait_alu 0xfffe
	s_or_b32 exec_lo, exec_lo, s1
	s_delay_alu instid0(VALU_DEP_1)
	v_readfirstlane_b32 s1, v0
	s_cmp_eq_u32 s1, 0
	s_cbranch_scc1 .LBB6_2505
; %bb.2504:                             ;   in Loop: Header=BB6_2506 Depth=1
	s_sleep 1
	s_cbranch_execnz .LBB6_2506
	s_branch .LBB6_2508
.LBB6_2505:
	s_branch .LBB6_2508
.LBB6_2506:                             ; =>This Inner Loop Header: Depth=1
	v_mov_b32_e32 v0, 1
	s_and_saveexec_b32 s1, s0
	s_cbranch_execz .LBB6_2503
; %bb.2507:                             ;   in Loop: Header=BB6_2506 Depth=1
	global_load_b32 v0, v[8:9], off offset:20 scope:SCOPE_SYS
	s_wait_loadcnt 0x0
	global_inv scope:SCOPE_SYS
	v_and_b32_e32 v0, 1, v0
	s_branch .LBB6_2503
.LBB6_2508:
	global_load_b64 v[0:1], v[10:11], off
	s_and_saveexec_b32 s6, s0
	s_cbranch_execz .LBB6_2512
; %bb.2509:
	v_mov_b32_e32 v8, 0
	s_clause 0x2
	global_load_b64 v[2:3], v8, s[2:3] offset:40
	global_load_b64 v[11:12], v8, s[2:3] offset:24 scope:SCOPE_SYS
	global_load_b64 v[4:5], v8, s[2:3]
	s_wait_loadcnt 0x2
	v_readfirstlane_b32 s8, v2
	v_readfirstlane_b32 s9, v3
	s_add_nc_u64 s[0:1], s[8:9], 1
	s_wait_alu 0xfffe
	s_add_nc_u64 s[4:5], s[0:1], s[4:5]
	s_wait_alu 0xfffe
	s_cmp_eq_u64 s[4:5], 0
	s_cselect_b32 s1, s1, s5
	s_cselect_b32 s0, s0, s4
	s_wait_alu 0xfffe
	v_mov_b32_e32 v10, s1
	s_and_b64 s[4:5], s[0:1], s[8:9]
	v_mov_b32_e32 v9, s0
	s_wait_alu 0xfffe
	s_mul_u64 s[4:5], s[4:5], 24
	s_wait_loadcnt 0x0
	s_wait_alu 0xfffe
	v_add_co_u32 v6, vcc_lo, v4, s4
	s_wait_alu 0xfffd
	v_add_co_ci_u32_e64 v7, null, s5, v5, vcc_lo
	global_store_b64 v[6:7], v[11:12], off
	global_wb scope:SCOPE_SYS
	s_wait_storecnt 0x0
	global_atomic_cmpswap_b64 v[4:5], v8, v[9:12], s[2:3] offset:24 th:TH_ATOMIC_RETURN scope:SCOPE_SYS
	s_wait_loadcnt 0x0
	v_cmp_ne_u64_e32 vcc_lo, v[4:5], v[11:12]
	s_and_b32 exec_lo, exec_lo, vcc_lo
	s_cbranch_execz .LBB6_2512
; %bb.2510:
	s_mov_b32 s4, 0
.LBB6_2511:                             ; =>This Inner Loop Header: Depth=1
	v_dual_mov_b32 v2, s0 :: v_dual_mov_b32 v3, s1
	s_sleep 1
	global_store_b64 v[6:7], v[4:5], off
	global_wb scope:SCOPE_SYS
	s_wait_storecnt 0x0
	global_atomic_cmpswap_b64 v[2:3], v8, v[2:5], s[2:3] offset:24 th:TH_ATOMIC_RETURN scope:SCOPE_SYS
	s_wait_loadcnt 0x0
	v_cmp_eq_u64_e32 vcc_lo, v[2:3], v[4:5]
	v_dual_mov_b32 v5, v3 :: v_dual_mov_b32 v4, v2
	s_wait_alu 0xfffe
	s_or_b32 s4, vcc_lo, s4
	s_wait_alu 0xfffe
	s_and_not1_b32 exec_lo, exec_lo, s4
	s_cbranch_execnz .LBB6_2511
.LBB6_2512:
	s_wait_alu 0xfffe
	s_or_b32 exec_lo, exec_lo, s6
	s_getpc_b64 s[4:5]
	s_wait_alu 0xfffe
	s_sext_i32_i16 s5, s5
	s_add_co_u32 s4, s4, .str.28@rel32@lo+12
	s_wait_alu 0xfffe
	s_add_co_ci_u32 s5, s5, .str.28@rel32@hi+24
	s_wait_alu 0xfffe
	s_cmp_lg_u64 s[4:5], 0
	s_cbranch_scc0 .LBB6_2591
; %bb.2513:
	s_wait_loadcnt 0x0
	v_dual_mov_b32 v7, v1 :: v_dual_and_b32 v6, -3, v0
	v_dual_mov_b32 v3, 0 :: v_dual_mov_b32 v4, 2
	v_mov_b32_e32 v5, 1
	s_mov_b64 s[6:7], 35
	s_branch .LBB6_2515
.LBB6_2514:                             ;   in Loop: Header=BB6_2515 Depth=1
	s_wait_alu 0xfffe
	s_or_b32 exec_lo, exec_lo, s12
	s_sub_nc_u64 s[6:7], s[6:7], s[8:9]
	s_add_nc_u64 s[4:5], s[4:5], s[8:9]
	s_wait_alu 0xfffe
	s_cmp_lg_u64 s[6:7], 0
	s_cbranch_scc0 .LBB6_2590
.LBB6_2515:                             ; =>This Loop Header: Depth=1
                                        ;     Child Loop BB6_2518 Depth 2
                                        ;     Child Loop BB6_2525 Depth 2
	;; [unrolled: 1-line block ×11, first 2 shown]
	s_wait_alu 0xfffe
	v_cmp_lt_u64_e64 s0, s[6:7], 56
	v_cmp_gt_u64_e64 s1, s[6:7], 7
	s_and_b32 s0, s0, exec_lo
	s_cselect_b32 s9, s7, 0
	s_cselect_b32 s8, s6, 56
	s_and_b32 vcc_lo, exec_lo, s1
	s_wait_alu 0xfffe
	s_cbranch_vccnz .LBB6_2520
; %bb.2516:                             ;   in Loop: Header=BB6_2515 Depth=1
	s_wait_loadcnt 0x0
	v_mov_b32_e32 v8, 0
	v_mov_b32_e32 v9, 0
	s_cmp_eq_u64 s[6:7], 0
	s_cbranch_scc1 .LBB6_2519
; %bb.2517:                             ;   in Loop: Header=BB6_2515 Depth=1
	s_mov_b64 s[0:1], 0
	s_mov_b64 s[10:11], 0
.LBB6_2518:                             ;   Parent Loop BB6_2515 Depth=1
                                        ; =>  This Inner Loop Header: Depth=2
	s_wait_alu 0xfffe
	s_add_nc_u64 s[12:13], s[4:5], s[10:11]
	s_add_nc_u64 s[10:11], s[10:11], 1
	global_load_u8 v2, v3, s[12:13]
	s_wait_alu 0xfffe
	s_cmp_lg_u32 s8, s10
	s_wait_loadcnt 0x0
	v_and_b32_e32 v2, 0xffff, v2
	s_delay_alu instid0(VALU_DEP_1) | instskip(SKIP_1) | instid1(VALU_DEP_1)
	v_lshlrev_b64_e32 v[10:11], s0, v[2:3]
	s_add_nc_u64 s[0:1], s[0:1], 8
	v_or_b32_e32 v8, v10, v8
	s_delay_alu instid0(VALU_DEP_2)
	v_or_b32_e32 v9, v11, v9
	s_cbranch_scc1 .LBB6_2518
.LBB6_2519:                             ;   in Loop: Header=BB6_2515 Depth=1
	s_mov_b64 s[10:11], s[4:5]
	s_mov_b32 s14, 0
	s_cbranch_execz .LBB6_2521
	s_branch .LBB6_2522
.LBB6_2520:                             ;   in Loop: Header=BB6_2515 Depth=1
	s_add_nc_u64 s[10:11], s[4:5], 8
	s_mov_b32 s14, 0
.LBB6_2521:                             ;   in Loop: Header=BB6_2515 Depth=1
	s_wait_loadcnt 0x0
	global_load_b64 v[8:9], v3, s[4:5]
	s_add_co_i32 s14, s8, -8
.LBB6_2522:                             ;   in Loop: Header=BB6_2515 Depth=1
	s_wait_alu 0xfffe
	s_cmp_gt_u32 s14, 7
	s_cbranch_scc1 .LBB6_2527
; %bb.2523:                             ;   in Loop: Header=BB6_2515 Depth=1
	v_mov_b32_e32 v10, 0
	v_mov_b32_e32 v11, 0
	s_cmp_eq_u32 s14, 0
	s_cbranch_scc1 .LBB6_2526
; %bb.2524:                             ;   in Loop: Header=BB6_2515 Depth=1
	s_mov_b64 s[0:1], 0
	s_mov_b64 s[12:13], 0
.LBB6_2525:                             ;   Parent Loop BB6_2515 Depth=1
                                        ; =>  This Inner Loop Header: Depth=2
	s_wait_alu 0xfffe
	s_add_nc_u64 s[22:23], s[10:11], s[12:13]
	s_add_nc_u64 s[12:13], s[12:13], 1
	global_load_u8 v2, v3, s[22:23]
	s_wait_alu 0xfffe
	s_cmp_lg_u32 s14, s12
	s_wait_loadcnt 0x0
	v_and_b32_e32 v2, 0xffff, v2
	s_delay_alu instid0(VALU_DEP_1) | instskip(SKIP_1) | instid1(VALU_DEP_1)
	v_lshlrev_b64_e32 v[12:13], s0, v[2:3]
	s_add_nc_u64 s[0:1], s[0:1], 8
	v_or_b32_e32 v10, v12, v10
	s_delay_alu instid0(VALU_DEP_2)
	v_or_b32_e32 v11, v13, v11
	s_cbranch_scc1 .LBB6_2525
.LBB6_2526:                             ;   in Loop: Header=BB6_2515 Depth=1
	s_mov_b64 s[0:1], s[10:11]
	s_mov_b32 s15, 0
	s_cbranch_execz .LBB6_2528
	s_branch .LBB6_2529
.LBB6_2527:                             ;   in Loop: Header=BB6_2515 Depth=1
	s_add_nc_u64 s[0:1], s[10:11], 8
                                        ; implicit-def: $vgpr10_vgpr11
	s_mov_b32 s15, 0
.LBB6_2528:                             ;   in Loop: Header=BB6_2515 Depth=1
	global_load_b64 v[10:11], v3, s[10:11]
	s_add_co_i32 s15, s14, -8
.LBB6_2529:                             ;   in Loop: Header=BB6_2515 Depth=1
	s_wait_alu 0xfffe
	s_cmp_gt_u32 s15, 7
	s_cbranch_scc1 .LBB6_2534
; %bb.2530:                             ;   in Loop: Header=BB6_2515 Depth=1
	v_mov_b32_e32 v12, 0
	v_mov_b32_e32 v13, 0
	s_cmp_eq_u32 s15, 0
	s_cbranch_scc1 .LBB6_2533
; %bb.2531:                             ;   in Loop: Header=BB6_2515 Depth=1
	s_mov_b64 s[10:11], 0
	s_mov_b64 s[12:13], 0
.LBB6_2532:                             ;   Parent Loop BB6_2515 Depth=1
                                        ; =>  This Inner Loop Header: Depth=2
	s_wait_alu 0xfffe
	s_add_nc_u64 s[22:23], s[0:1], s[12:13]
	s_add_nc_u64 s[12:13], s[12:13], 1
	global_load_u8 v2, v3, s[22:23]
	s_wait_alu 0xfffe
	s_cmp_lg_u32 s15, s12
	s_wait_loadcnt 0x0
	v_and_b32_e32 v2, 0xffff, v2
	s_delay_alu instid0(VALU_DEP_1) | instskip(SKIP_1) | instid1(VALU_DEP_1)
	v_lshlrev_b64_e32 v[14:15], s10, v[2:3]
	s_add_nc_u64 s[10:11], s[10:11], 8
	v_or_b32_e32 v12, v14, v12
	s_delay_alu instid0(VALU_DEP_2)
	v_or_b32_e32 v13, v15, v13
	s_cbranch_scc1 .LBB6_2532
.LBB6_2533:                             ;   in Loop: Header=BB6_2515 Depth=1
	s_mov_b64 s[10:11], s[0:1]
	s_mov_b32 s14, 0
	s_cbranch_execz .LBB6_2535
	s_branch .LBB6_2536
.LBB6_2534:                             ;   in Loop: Header=BB6_2515 Depth=1
	s_add_nc_u64 s[10:11], s[0:1], 8
	s_mov_b32 s14, 0
.LBB6_2535:                             ;   in Loop: Header=BB6_2515 Depth=1
	global_load_b64 v[12:13], v3, s[0:1]
	s_add_co_i32 s14, s15, -8
.LBB6_2536:                             ;   in Loop: Header=BB6_2515 Depth=1
	s_wait_alu 0xfffe
	s_cmp_gt_u32 s14, 7
	s_cbranch_scc1 .LBB6_2541
; %bb.2537:                             ;   in Loop: Header=BB6_2515 Depth=1
	v_mov_b32_e32 v14, 0
	v_mov_b32_e32 v15, 0
	s_cmp_eq_u32 s14, 0
	s_cbranch_scc1 .LBB6_2540
; %bb.2538:                             ;   in Loop: Header=BB6_2515 Depth=1
	s_mov_b64 s[0:1], 0
	s_mov_b64 s[12:13], 0
.LBB6_2539:                             ;   Parent Loop BB6_2515 Depth=1
                                        ; =>  This Inner Loop Header: Depth=2
	s_wait_alu 0xfffe
	s_add_nc_u64 s[22:23], s[10:11], s[12:13]
	s_add_nc_u64 s[12:13], s[12:13], 1
	global_load_u8 v2, v3, s[22:23]
	s_wait_alu 0xfffe
	s_cmp_lg_u32 s14, s12
	s_wait_loadcnt 0x0
	v_and_b32_e32 v2, 0xffff, v2
	s_delay_alu instid0(VALU_DEP_1) | instskip(SKIP_1) | instid1(VALU_DEP_1)
	v_lshlrev_b64_e32 v[16:17], s0, v[2:3]
	s_add_nc_u64 s[0:1], s[0:1], 8
	v_or_b32_e32 v14, v16, v14
	s_delay_alu instid0(VALU_DEP_2)
	v_or_b32_e32 v15, v17, v15
	s_cbranch_scc1 .LBB6_2539
.LBB6_2540:                             ;   in Loop: Header=BB6_2515 Depth=1
	s_mov_b64 s[0:1], s[10:11]
	s_mov_b32 s15, 0
	s_cbranch_execz .LBB6_2542
	s_branch .LBB6_2543
.LBB6_2541:                             ;   in Loop: Header=BB6_2515 Depth=1
	s_add_nc_u64 s[0:1], s[10:11], 8
                                        ; implicit-def: $vgpr14_vgpr15
	s_mov_b32 s15, 0
.LBB6_2542:                             ;   in Loop: Header=BB6_2515 Depth=1
	global_load_b64 v[14:15], v3, s[10:11]
	s_add_co_i32 s15, s14, -8
.LBB6_2543:                             ;   in Loop: Header=BB6_2515 Depth=1
	s_wait_alu 0xfffe
	s_cmp_gt_u32 s15, 7
	s_cbranch_scc1 .LBB6_2548
; %bb.2544:                             ;   in Loop: Header=BB6_2515 Depth=1
	v_mov_b32_e32 v16, 0
	v_mov_b32_e32 v17, 0
	s_cmp_eq_u32 s15, 0
	s_cbranch_scc1 .LBB6_2547
; %bb.2545:                             ;   in Loop: Header=BB6_2515 Depth=1
	s_mov_b64 s[10:11], 0
	s_mov_b64 s[12:13], 0
.LBB6_2546:                             ;   Parent Loop BB6_2515 Depth=1
                                        ; =>  This Inner Loop Header: Depth=2
	s_wait_alu 0xfffe
	s_add_nc_u64 s[22:23], s[0:1], s[12:13]
	s_add_nc_u64 s[12:13], s[12:13], 1
	global_load_u8 v2, v3, s[22:23]
	s_wait_alu 0xfffe
	s_cmp_lg_u32 s15, s12
	s_wait_loadcnt 0x0
	v_and_b32_e32 v2, 0xffff, v2
	s_delay_alu instid0(VALU_DEP_1) | instskip(SKIP_1) | instid1(VALU_DEP_1)
	v_lshlrev_b64_e32 v[18:19], s10, v[2:3]
	s_add_nc_u64 s[10:11], s[10:11], 8
	v_or_b32_e32 v16, v18, v16
	s_delay_alu instid0(VALU_DEP_2)
	v_or_b32_e32 v17, v19, v17
	s_cbranch_scc1 .LBB6_2546
.LBB6_2547:                             ;   in Loop: Header=BB6_2515 Depth=1
	s_mov_b64 s[10:11], s[0:1]
	s_mov_b32 s14, 0
	s_cbranch_execz .LBB6_2549
	s_branch .LBB6_2550
.LBB6_2548:                             ;   in Loop: Header=BB6_2515 Depth=1
	s_add_nc_u64 s[10:11], s[0:1], 8
	s_mov_b32 s14, 0
.LBB6_2549:                             ;   in Loop: Header=BB6_2515 Depth=1
	global_load_b64 v[16:17], v3, s[0:1]
	s_add_co_i32 s14, s15, -8
.LBB6_2550:                             ;   in Loop: Header=BB6_2515 Depth=1
	s_wait_alu 0xfffe
	s_cmp_gt_u32 s14, 7
	s_cbranch_scc1 .LBB6_2555
; %bb.2551:                             ;   in Loop: Header=BB6_2515 Depth=1
	v_mov_b32_e32 v18, 0
	v_mov_b32_e32 v19, 0
	s_cmp_eq_u32 s14, 0
	s_cbranch_scc1 .LBB6_2554
; %bb.2552:                             ;   in Loop: Header=BB6_2515 Depth=1
	s_mov_b64 s[0:1], 0
	s_mov_b64 s[12:13], 0
.LBB6_2553:                             ;   Parent Loop BB6_2515 Depth=1
                                        ; =>  This Inner Loop Header: Depth=2
	s_wait_alu 0xfffe
	s_add_nc_u64 s[22:23], s[10:11], s[12:13]
	s_add_nc_u64 s[12:13], s[12:13], 1
	global_load_u8 v2, v3, s[22:23]
	s_wait_alu 0xfffe
	s_cmp_lg_u32 s14, s12
	s_wait_loadcnt 0x0
	v_and_b32_e32 v2, 0xffff, v2
	s_delay_alu instid0(VALU_DEP_1) | instskip(SKIP_1) | instid1(VALU_DEP_1)
	v_lshlrev_b64_e32 v[20:21], s0, v[2:3]
	s_add_nc_u64 s[0:1], s[0:1], 8
	v_or_b32_e32 v18, v20, v18
	s_delay_alu instid0(VALU_DEP_2)
	v_or_b32_e32 v19, v21, v19
	s_cbranch_scc1 .LBB6_2553
.LBB6_2554:                             ;   in Loop: Header=BB6_2515 Depth=1
	s_mov_b64 s[0:1], s[10:11]
	s_mov_b32 s15, 0
	s_cbranch_execz .LBB6_2556
	s_branch .LBB6_2557
.LBB6_2555:                             ;   in Loop: Header=BB6_2515 Depth=1
	s_add_nc_u64 s[0:1], s[10:11], 8
                                        ; implicit-def: $vgpr18_vgpr19
	s_mov_b32 s15, 0
.LBB6_2556:                             ;   in Loop: Header=BB6_2515 Depth=1
	global_load_b64 v[18:19], v3, s[10:11]
	s_add_co_i32 s15, s14, -8
.LBB6_2557:                             ;   in Loop: Header=BB6_2515 Depth=1
	s_wait_alu 0xfffe
	s_cmp_gt_u32 s15, 7
	s_cbranch_scc1 .LBB6_2562
; %bb.2558:                             ;   in Loop: Header=BB6_2515 Depth=1
	v_mov_b32_e32 v20, 0
	v_mov_b32_e32 v21, 0
	s_cmp_eq_u32 s15, 0
	s_cbranch_scc1 .LBB6_2561
; %bb.2559:                             ;   in Loop: Header=BB6_2515 Depth=1
	s_mov_b64 s[10:11], 0
	s_mov_b64 s[12:13], s[0:1]
.LBB6_2560:                             ;   Parent Loop BB6_2515 Depth=1
                                        ; =>  This Inner Loop Header: Depth=2
	global_load_u8 v2, v3, s[12:13]
	s_add_co_i32 s15, s15, -1
	s_wait_alu 0xfffe
	s_add_nc_u64 s[12:13], s[12:13], 1
	s_cmp_lg_u32 s15, 0
	s_wait_loadcnt 0x0
	v_and_b32_e32 v2, 0xffff, v2
	s_delay_alu instid0(VALU_DEP_1) | instskip(SKIP_1) | instid1(VALU_DEP_1)
	v_lshlrev_b64_e32 v[22:23], s10, v[2:3]
	s_add_nc_u64 s[10:11], s[10:11], 8
	v_or_b32_e32 v20, v22, v20
	s_delay_alu instid0(VALU_DEP_2)
	v_or_b32_e32 v21, v23, v21
	s_cbranch_scc1 .LBB6_2560
.LBB6_2561:                             ;   in Loop: Header=BB6_2515 Depth=1
	s_cbranch_execz .LBB6_2563
	s_branch .LBB6_2564
.LBB6_2562:                             ;   in Loop: Header=BB6_2515 Depth=1
.LBB6_2563:                             ;   in Loop: Header=BB6_2515 Depth=1
	global_load_b64 v[20:21], v3, s[0:1]
.LBB6_2564:                             ;   in Loop: Header=BB6_2515 Depth=1
	v_readfirstlane_b32 s0, v31
	v_mov_b32_e32 v26, 0
	v_mov_b32_e32 v27, 0
	s_wait_alu 0xf1ff
	s_delay_alu instid0(VALU_DEP_3)
	v_cmp_eq_u32_e64 s0, s0, v31
	s_and_saveexec_b32 s1, s0
	s_cbranch_execz .LBB6_2570
; %bb.2565:                             ;   in Loop: Header=BB6_2515 Depth=1
	global_load_b64 v[24:25], v3, s[2:3] offset:24 scope:SCOPE_SYS
	s_wait_loadcnt 0x0
	global_inv scope:SCOPE_SYS
	s_clause 0x1
	global_load_b64 v[22:23], v3, s[2:3] offset:40
	global_load_b64 v[26:27], v3, s[2:3]
	s_mov_b32 s10, exec_lo
	s_wait_loadcnt 0x1
	v_and_b32_e32 v2, v23, v25
	v_and_b32_e32 v22, v22, v24
	s_delay_alu instid0(VALU_DEP_2) | instskip(NEXT) | instid1(VALU_DEP_2)
	v_mul_lo_u32 v2, 24, v2
	v_mul_lo_u32 v23, 0, v22
	v_mul_hi_u32 v28, 24, v22
	v_mul_lo_u32 v22, 24, v22
	s_delay_alu instid0(VALU_DEP_3) | instskip(SKIP_1) | instid1(VALU_DEP_2)
	v_add_nc_u32_e32 v2, v2, v23
	s_wait_loadcnt 0x0
	v_add_co_u32 v22, vcc_lo, v26, v22
	s_delay_alu instid0(VALU_DEP_2) | instskip(SKIP_1) | instid1(VALU_DEP_1)
	v_add_nc_u32_e32 v2, v2, v28
	s_wait_alu 0xfffd
	v_add_co_ci_u32_e64 v23, null, v27, v2, vcc_lo
	global_load_b64 v[22:23], v[22:23], off scope:SCOPE_SYS
	s_wait_loadcnt 0x0
	global_atomic_cmpswap_b64 v[26:27], v3, v[22:25], s[2:3] offset:24 th:TH_ATOMIC_RETURN scope:SCOPE_SYS
	s_wait_loadcnt 0x0
	global_inv scope:SCOPE_SYS
	v_cmpx_ne_u64_e64 v[26:27], v[24:25]
	s_cbranch_execz .LBB6_2569
; %bb.2566:                             ;   in Loop: Header=BB6_2515 Depth=1
	s_mov_b32 s11, 0
.LBB6_2567:                             ;   Parent Loop BB6_2515 Depth=1
                                        ; =>  This Inner Loop Header: Depth=2
	s_sleep 1
	s_clause 0x1
	global_load_b64 v[22:23], v3, s[2:3] offset:40
	global_load_b64 v[28:29], v3, s[2:3]
	v_dual_mov_b32 v24, v26 :: v_dual_mov_b32 v25, v27
	s_wait_loadcnt 0x1
	s_delay_alu instid0(VALU_DEP_1) | instskip(NEXT) | instid1(VALU_DEP_2)
	v_and_b32_e32 v2, v22, v24
	v_and_b32_e32 v22, v23, v25
	s_wait_loadcnt 0x0
	s_delay_alu instid0(VALU_DEP_2) | instskip(NEXT) | instid1(VALU_DEP_1)
	v_mad_co_u64_u32 v[26:27], null, v2, 24, v[28:29]
	v_mov_b32_e32 v2, v27
	s_delay_alu instid0(VALU_DEP_1) | instskip(NEXT) | instid1(VALU_DEP_1)
	v_mad_co_u64_u32 v[22:23], null, v22, 24, v[2:3]
	v_mov_b32_e32 v27, v22
	global_load_b64 v[22:23], v[26:27], off scope:SCOPE_SYS
	s_wait_loadcnt 0x0
	global_atomic_cmpswap_b64 v[26:27], v3, v[22:25], s[2:3] offset:24 th:TH_ATOMIC_RETURN scope:SCOPE_SYS
	s_wait_loadcnt 0x0
	global_inv scope:SCOPE_SYS
	v_cmp_eq_u64_e32 vcc_lo, v[26:27], v[24:25]
	s_wait_alu 0xfffe
	s_or_b32 s11, vcc_lo, s11
	s_wait_alu 0xfffe
	s_and_not1_b32 exec_lo, exec_lo, s11
	s_cbranch_execnz .LBB6_2567
; %bb.2568:                             ;   in Loop: Header=BB6_2515 Depth=1
	s_or_b32 exec_lo, exec_lo, s11
.LBB6_2569:                             ;   in Loop: Header=BB6_2515 Depth=1
	s_wait_alu 0xfffe
	s_or_b32 exec_lo, exec_lo, s10
.LBB6_2570:                             ;   in Loop: Header=BB6_2515 Depth=1
	s_wait_alu 0xfffe
	s_or_b32 exec_lo, exec_lo, s1
	s_clause 0x1
	global_load_b64 v[28:29], v3, s[2:3] offset:40
	global_load_b128 v[22:25], v3, s[2:3]
	v_readfirstlane_b32 s11, v27
	v_readfirstlane_b32 s10, v26
	s_mov_b32 s1, exec_lo
	s_wait_loadcnt 0x1
	s_wait_alu 0xf1ff
	v_and_b32_e32 v29, s11, v29
	v_and_b32_e32 v28, s10, v28
	s_delay_alu instid0(VALU_DEP_2) | instskip(NEXT) | instid1(VALU_DEP_2)
	v_mul_lo_u32 v2, 24, v29
	v_mul_lo_u32 v26, 0, v28
	v_mul_hi_u32 v27, 24, v28
	v_mul_lo_u32 v32, 24, v28
	s_delay_alu instid0(VALU_DEP_3) | instskip(SKIP_1) | instid1(VALU_DEP_2)
	v_add_nc_u32_e32 v2, v2, v26
	s_wait_loadcnt 0x0
	v_add_co_u32 v26, vcc_lo, v22, v32
	s_delay_alu instid0(VALU_DEP_2) | instskip(SKIP_1) | instid1(VALU_DEP_1)
	v_add_nc_u32_e32 v2, v2, v27
	s_wait_alu 0xfffd
	v_add_co_ci_u32_e64 v27, null, v23, v2, vcc_lo
	s_and_saveexec_b32 s12, s0
	s_cbranch_execz .LBB6_2572
; %bb.2571:                             ;   in Loop: Header=BB6_2515 Depth=1
	s_wait_alu 0xfffe
	v_mov_b32_e32 v2, s1
	global_store_b128 v[26:27], v[2:5], off offset:8
.LBB6_2572:                             ;   in Loop: Header=BB6_2515 Depth=1
	s_wait_alu 0xfffe
	s_or_b32 exec_lo, exec_lo, s12
	v_cmp_gt_u64_e64 s1, s[6:7], 56
	v_lshlrev_b64_e32 v[28:29], 12, v[28:29]
	v_and_b32_e32 v2, 0xffffff1f, v6
	s_and_b32 s1, s1, exec_lo
	s_delay_alu instid0(VALU_DEP_2)
	v_add_co_u32 v24, vcc_lo, v24, v28
	s_cselect_b32 s1, 0, 2
	s_wait_alu 0xfffd
	v_add_co_ci_u32_e64 v25, null, v25, v29, vcc_lo
	s_wait_alu 0xfffe
	v_or_b32_e32 v2, s1, v2
	s_lshl_b32 s12, s8, 2
	s_wait_alu 0xfffe
	s_add_co_i32 s1, s12, 28
	v_readfirstlane_b32 s12, v24
	v_readfirstlane_b32 s13, v25
	s_wait_alu 0xfffe
	v_and_or_b32 v6, 0x1e0, s1, v2
	s_clause 0x3
	global_store_b128 v30, v[6:9], s[12:13]
	global_store_b128 v30, v[10:13], s[12:13] offset:16
	global_store_b128 v30, v[14:17], s[12:13] offset:32
	global_store_b128 v30, v[18:21], s[12:13] offset:48
	s_and_saveexec_b32 s1, s0
	s_cbranch_execz .LBB6_2580
; %bb.2573:                             ;   in Loop: Header=BB6_2515 Depth=1
	s_clause 0x1
	global_load_b64 v[14:15], v3, s[2:3] offset:32 scope:SCOPE_SYS
	global_load_b64 v[6:7], v3, s[2:3] offset:40
	v_mov_b32_e32 v12, s10
	s_mov_b32 s12, exec_lo
	s_wait_loadcnt 0x0
	v_dual_mov_b32 v13, s11 :: v_dual_and_b32 v2, s11, v7
	v_and_b32_e32 v6, s10, v6
	s_delay_alu instid0(VALU_DEP_2) | instskip(NEXT) | instid1(VALU_DEP_2)
	v_mul_lo_u32 v2, 24, v2
	v_mul_lo_u32 v7, 0, v6
	v_mul_hi_u32 v8, 24, v6
	v_mul_lo_u32 v6, 24, v6
	s_delay_alu instid0(VALU_DEP_3) | instskip(NEXT) | instid1(VALU_DEP_2)
	v_add_nc_u32_e32 v2, v2, v7
	v_add_co_u32 v10, vcc_lo, v22, v6
	s_delay_alu instid0(VALU_DEP_2) | instskip(SKIP_1) | instid1(VALU_DEP_1)
	v_add_nc_u32_e32 v2, v2, v8
	s_wait_alu 0xfffd
	v_add_co_ci_u32_e64 v11, null, v23, v2, vcc_lo
	global_store_b64 v[10:11], v[14:15], off
	global_wb scope:SCOPE_SYS
	s_wait_storecnt 0x0
	global_atomic_cmpswap_b64 v[8:9], v3, v[12:15], s[2:3] offset:32 th:TH_ATOMIC_RETURN scope:SCOPE_SYS
	s_wait_loadcnt 0x0
	v_cmpx_ne_u64_e64 v[8:9], v[14:15]
	s_cbranch_execz .LBB6_2576
; %bb.2574:                             ;   in Loop: Header=BB6_2515 Depth=1
	s_mov_b32 s13, 0
.LBB6_2575:                             ;   Parent Loop BB6_2515 Depth=1
                                        ; =>  This Inner Loop Header: Depth=2
	v_dual_mov_b32 v6, s10 :: v_dual_mov_b32 v7, s11
	s_sleep 1
	global_store_b64 v[10:11], v[8:9], off
	global_wb scope:SCOPE_SYS
	s_wait_storecnt 0x0
	global_atomic_cmpswap_b64 v[6:7], v3, v[6:9], s[2:3] offset:32 th:TH_ATOMIC_RETURN scope:SCOPE_SYS
	s_wait_loadcnt 0x0
	v_cmp_eq_u64_e32 vcc_lo, v[6:7], v[8:9]
	v_dual_mov_b32 v9, v7 :: v_dual_mov_b32 v8, v6
	s_wait_alu 0xfffe
	s_or_b32 s13, vcc_lo, s13
	s_wait_alu 0xfffe
	s_and_not1_b32 exec_lo, exec_lo, s13
	s_cbranch_execnz .LBB6_2575
.LBB6_2576:                             ;   in Loop: Header=BB6_2515 Depth=1
	s_wait_alu 0xfffe
	s_or_b32 exec_lo, exec_lo, s12
	global_load_b64 v[6:7], v3, s[2:3] offset:16
	s_mov_b32 s13, exec_lo
	s_mov_b32 s12, exec_lo
	s_wait_alu 0xfffe
	v_mbcnt_lo_u32_b32 v2, s13, 0
	s_delay_alu instid0(VALU_DEP_1)
	v_cmpx_eq_u32_e32 0, v2
	s_cbranch_execz .LBB6_2578
; %bb.2577:                             ;   in Loop: Header=BB6_2515 Depth=1
	s_bcnt1_i32_b32 s13, s13
	s_wait_alu 0xfffe
	v_mov_b32_e32 v2, s13
	global_wb scope:SCOPE_SYS
	s_wait_loadcnt 0x0
	s_wait_storecnt 0x0
	global_atomic_add_u64 v[6:7], v[2:3], off offset:8 scope:SCOPE_SYS
.LBB6_2578:                             ;   in Loop: Header=BB6_2515 Depth=1
	s_or_b32 exec_lo, exec_lo, s12
	s_wait_loadcnt 0x0
	global_load_b64 v[8:9], v[6:7], off offset:16
	s_wait_loadcnt 0x0
	v_cmp_eq_u64_e32 vcc_lo, 0, v[8:9]
	s_cbranch_vccnz .LBB6_2580
; %bb.2579:                             ;   in Loop: Header=BB6_2515 Depth=1
	global_load_b32 v2, v[6:7], off offset:24
	s_wait_loadcnt 0x0
	v_readfirstlane_b32 s12, v2
	global_wb scope:SCOPE_SYS
	s_wait_storecnt 0x0
	global_store_b64 v[8:9], v[2:3], off scope:SCOPE_SYS
	s_and_b32 m0, s12, 0xffffff
	s_sendmsg sendmsg(MSG_INTERRUPT)
.LBB6_2580:                             ;   in Loop: Header=BB6_2515 Depth=1
	s_wait_alu 0xfffe
	s_or_b32 exec_lo, exec_lo, s1
	v_add_co_u32 v6, vcc_lo, v24, v30
	s_wait_alu 0xfffd
	v_add_co_ci_u32_e64 v7, null, 0, v25, vcc_lo
	s_branch .LBB6_2584
.LBB6_2581:                             ;   in Loop: Header=BB6_2584 Depth=2
	s_wait_alu 0xfffe
	s_or_b32 exec_lo, exec_lo, s1
	s_delay_alu instid0(VALU_DEP_1)
	v_readfirstlane_b32 s1, v2
	s_cmp_eq_u32 s1, 0
	s_cbranch_scc1 .LBB6_2583
; %bb.2582:                             ;   in Loop: Header=BB6_2584 Depth=2
	s_sleep 1
	s_cbranch_execnz .LBB6_2584
	s_branch .LBB6_2586
.LBB6_2583:                             ;   in Loop: Header=BB6_2515 Depth=1
	s_branch .LBB6_2586
.LBB6_2584:                             ;   Parent Loop BB6_2515 Depth=1
                                        ; =>  This Inner Loop Header: Depth=2
	v_mov_b32_e32 v2, 1
	s_and_saveexec_b32 s1, s0
	s_cbranch_execz .LBB6_2581
; %bb.2585:                             ;   in Loop: Header=BB6_2584 Depth=2
	global_load_b32 v2, v[26:27], off offset:20 scope:SCOPE_SYS
	s_wait_loadcnt 0x0
	global_inv scope:SCOPE_SYS
	v_and_b32_e32 v2, 1, v2
	s_branch .LBB6_2581
.LBB6_2586:                             ;   in Loop: Header=BB6_2515 Depth=1
	global_load_b128 v[6:9], v[6:7], off
	s_and_saveexec_b32 s12, s0
	s_cbranch_execz .LBB6_2514
; %bb.2587:                             ;   in Loop: Header=BB6_2515 Depth=1
	s_wait_loadcnt 0x0
	s_clause 0x2
	global_load_b64 v[8:9], v3, s[2:3] offset:40
	global_load_b64 v[16:17], v3, s[2:3] offset:24 scope:SCOPE_SYS
	global_load_b64 v[10:11], v3, s[2:3]
	s_wait_loadcnt 0x2
	v_readfirstlane_b32 s14, v8
	v_readfirstlane_b32 s15, v9
	s_add_nc_u64 s[0:1], s[14:15], 1
	s_wait_alu 0xfffe
	s_add_nc_u64 s[10:11], s[0:1], s[10:11]
	s_wait_alu 0xfffe
	s_cmp_eq_u64 s[10:11], 0
	s_cselect_b32 s1, s1, s11
	s_cselect_b32 s0, s0, s10
	s_wait_alu 0xfffe
	v_dual_mov_b32 v15, s1 :: v_dual_mov_b32 v14, s0
	s_and_b64 s[10:11], s[0:1], s[14:15]
	s_wait_alu 0xfffe
	s_mul_u64 s[10:11], s[10:11], 24
	s_wait_loadcnt 0x0
	s_wait_alu 0xfffe
	v_add_co_u32 v12, vcc_lo, v10, s10
	s_wait_alu 0xfffd
	v_add_co_ci_u32_e64 v13, null, s11, v11, vcc_lo
	global_store_b64 v[12:13], v[16:17], off
	global_wb scope:SCOPE_SYS
	s_wait_storecnt 0x0
	global_atomic_cmpswap_b64 v[10:11], v3, v[14:17], s[2:3] offset:24 th:TH_ATOMIC_RETURN scope:SCOPE_SYS
	s_wait_loadcnt 0x0
	v_cmp_ne_u64_e32 vcc_lo, v[10:11], v[16:17]
	s_and_b32 exec_lo, exec_lo, vcc_lo
	s_cbranch_execz .LBB6_2514
; %bb.2588:                             ;   in Loop: Header=BB6_2515 Depth=1
	s_mov_b32 s10, 0
.LBB6_2589:                             ;   Parent Loop BB6_2515 Depth=1
                                        ; =>  This Inner Loop Header: Depth=2
	v_dual_mov_b32 v8, s0 :: v_dual_mov_b32 v9, s1
	s_sleep 1
	global_store_b64 v[12:13], v[10:11], off
	global_wb scope:SCOPE_SYS
	s_wait_storecnt 0x0
	global_atomic_cmpswap_b64 v[8:9], v3, v[8:11], s[2:3] offset:24 th:TH_ATOMIC_RETURN scope:SCOPE_SYS
	s_wait_loadcnt 0x0
	v_cmp_eq_u64_e32 vcc_lo, v[8:9], v[10:11]
	v_dual_mov_b32 v11, v9 :: v_dual_mov_b32 v10, v8
	s_wait_alu 0xfffe
	s_or_b32 s10, vcc_lo, s10
	s_wait_alu 0xfffe
	s_and_not1_b32 exec_lo, exec_lo, s10
	s_cbranch_execnz .LBB6_2589
	s_branch .LBB6_2514
.LBB6_2590:
	s_mov_b32 s0, 0
	s_branch .LBB6_2592
.LBB6_2591:
	s_mov_b32 s0, -1
.LBB6_2592:
	s_wait_alu 0xfffe
	s_and_b32 vcc_lo, exec_lo, s0
	s_wait_alu 0xfffe
	s_cbranch_vccz .LBB6_2620
; %bb.2593:
	v_readfirstlane_b32 s0, v31
	s_wait_loadcnt 0x0
	v_mov_b32_e32 v8, 0
	v_mov_b32_e32 v9, 0
	s_wait_alu 0xf1ff
	v_cmp_eq_u32_e64 s0, s0, v31
	s_and_saveexec_b32 s1, s0
	s_cbranch_execz .LBB6_2599
; %bb.2594:
	v_mov_b32_e32 v2, 0
	s_mov_b32 s4, exec_lo
	global_load_b64 v[5:6], v2, s[2:3] offset:24 scope:SCOPE_SYS
	s_wait_loadcnt 0x0
	global_inv scope:SCOPE_SYS
	s_clause 0x1
	global_load_b64 v[3:4], v2, s[2:3] offset:40
	global_load_b64 v[7:8], v2, s[2:3]
	s_wait_loadcnt 0x1
	v_and_b32_e32 v4, v4, v6
	v_and_b32_e32 v3, v3, v5
	s_delay_alu instid0(VALU_DEP_2) | instskip(NEXT) | instid1(VALU_DEP_2)
	v_mul_lo_u32 v4, 24, v4
	v_mul_lo_u32 v9, 0, v3
	v_mul_hi_u32 v10, 24, v3
	v_mul_lo_u32 v3, 24, v3
	s_delay_alu instid0(VALU_DEP_3) | instskip(SKIP_1) | instid1(VALU_DEP_2)
	v_add_nc_u32_e32 v4, v4, v9
	s_wait_loadcnt 0x0
	v_add_co_u32 v3, vcc_lo, v7, v3
	s_delay_alu instid0(VALU_DEP_2) | instskip(SKIP_1) | instid1(VALU_DEP_1)
	v_add_nc_u32_e32 v4, v4, v10
	s_wait_alu 0xfffd
	v_add_co_ci_u32_e64 v4, null, v8, v4, vcc_lo
	global_load_b64 v[3:4], v[3:4], off scope:SCOPE_SYS
	s_wait_loadcnt 0x0
	global_atomic_cmpswap_b64 v[8:9], v2, v[3:6], s[2:3] offset:24 th:TH_ATOMIC_RETURN scope:SCOPE_SYS
	s_wait_loadcnt 0x0
	global_inv scope:SCOPE_SYS
	v_cmpx_ne_u64_e64 v[8:9], v[5:6]
	s_cbranch_execz .LBB6_2598
; %bb.2595:
	s_mov_b32 s5, 0
.LBB6_2596:                             ; =>This Inner Loop Header: Depth=1
	s_sleep 1
	s_clause 0x1
	global_load_b64 v[3:4], v2, s[2:3] offset:40
	global_load_b64 v[10:11], v2, s[2:3]
	v_dual_mov_b32 v5, v8 :: v_dual_mov_b32 v6, v9
	s_wait_loadcnt 0x1
	s_delay_alu instid0(VALU_DEP_1) | instskip(NEXT) | instid1(VALU_DEP_2)
	v_and_b32_e32 v3, v3, v5
	v_and_b32_e32 v4, v4, v6
	s_wait_loadcnt 0x0
	s_delay_alu instid0(VALU_DEP_2) | instskip(NEXT) | instid1(VALU_DEP_1)
	v_mad_co_u64_u32 v[7:8], null, v3, 24, v[10:11]
	v_mov_b32_e32 v3, v8
	s_delay_alu instid0(VALU_DEP_1) | instskip(NEXT) | instid1(VALU_DEP_1)
	v_mad_co_u64_u32 v[3:4], null, v4, 24, v[3:4]
	v_mov_b32_e32 v8, v3
	global_load_b64 v[3:4], v[7:8], off scope:SCOPE_SYS
	s_wait_loadcnt 0x0
	global_atomic_cmpswap_b64 v[8:9], v2, v[3:6], s[2:3] offset:24 th:TH_ATOMIC_RETURN scope:SCOPE_SYS
	s_wait_loadcnt 0x0
	global_inv scope:SCOPE_SYS
	v_cmp_eq_u64_e32 vcc_lo, v[8:9], v[5:6]
	s_wait_alu 0xfffe
	s_or_b32 s5, vcc_lo, s5
	s_wait_alu 0xfffe
	s_and_not1_b32 exec_lo, exec_lo, s5
	s_cbranch_execnz .LBB6_2596
; %bb.2597:
	s_or_b32 exec_lo, exec_lo, s5
.LBB6_2598:
	s_wait_alu 0xfffe
	s_or_b32 exec_lo, exec_lo, s4
.LBB6_2599:
	s_wait_alu 0xfffe
	s_or_b32 exec_lo, exec_lo, s1
	v_readfirstlane_b32 s5, v9
	v_mov_b32_e32 v2, 0
	v_readfirstlane_b32 s4, v8
	s_mov_b32 s1, exec_lo
	s_clause 0x1
	global_load_b64 v[10:11], v2, s[2:3] offset:40
	global_load_b128 v[4:7], v2, s[2:3]
	s_wait_loadcnt 0x1
	s_wait_alu 0xf1ff
	v_and_b32_e32 v11, s5, v11
	v_and_b32_e32 v10, s4, v10
	s_delay_alu instid0(VALU_DEP_2) | instskip(NEXT) | instid1(VALU_DEP_2)
	v_mul_lo_u32 v3, 24, v11
	v_mul_lo_u32 v8, 0, v10
	v_mul_hi_u32 v9, 24, v10
	v_mul_lo_u32 v12, 24, v10
	s_delay_alu instid0(VALU_DEP_3) | instskip(SKIP_1) | instid1(VALU_DEP_2)
	v_add_nc_u32_e32 v3, v3, v8
	s_wait_loadcnt 0x0
	v_add_co_u32 v8, vcc_lo, v4, v12
	s_delay_alu instid0(VALU_DEP_2) | instskip(SKIP_1) | instid1(VALU_DEP_1)
	v_add_nc_u32_e32 v3, v3, v9
	s_wait_alu 0xfffd
	v_add_co_ci_u32_e64 v9, null, v5, v3, vcc_lo
	s_and_saveexec_b32 s6, s0
	s_cbranch_execz .LBB6_2601
; %bb.2600:
	s_wait_alu 0xfffe
	v_dual_mov_b32 v12, s1 :: v_dual_mov_b32 v13, v2
	v_dual_mov_b32 v14, 2 :: v_dual_mov_b32 v15, 1
	global_store_b128 v[8:9], v[12:15], off offset:8
.LBB6_2601:
	s_wait_alu 0xfffe
	s_or_b32 exec_lo, exec_lo, s6
	v_lshlrev_b64_e32 v[10:11], 12, v[10:11]
	s_mov_b32 s8, 0
	v_and_or_b32 v0, 0xffffff1d, v0, 34
	s_wait_alu 0xfffe
	s_mov_b32 s11, s8
	s_mov_b32 s9, s8
	;; [unrolled: 1-line block ×3, first 2 shown]
	v_add_co_u32 v6, vcc_lo, v6, v10
	s_wait_alu 0xfffd
	v_add_co_ci_u32_e64 v7, null, v7, v11, vcc_lo
	v_mov_b32_e32 v3, v2
	s_delay_alu instid0(VALU_DEP_3)
	v_readfirstlane_b32 s6, v6
	s_wait_alu 0xfffe
	v_dual_mov_b32 v13, s11 :: v_dual_mov_b32 v10, s8
	v_readfirstlane_b32 s7, v7
	v_dual_mov_b32 v12, s10 :: v_dual_mov_b32 v11, s9
	s_clause 0x3
	global_store_b128 v30, v[0:3], s[6:7]
	global_store_b128 v30, v[10:13], s[6:7] offset:16
	global_store_b128 v30, v[10:13], s[6:7] offset:32
	;; [unrolled: 1-line block ×3, first 2 shown]
	s_and_saveexec_b32 s1, s0
	s_cbranch_execz .LBB6_2609
; %bb.2602:
	v_mov_b32_e32 v6, 0
	s_mov_b32 s6, exec_lo
	s_clause 0x1
	global_load_b64 v[12:13], v6, s[2:3] offset:32 scope:SCOPE_SYS
	global_load_b64 v[0:1], v6, s[2:3] offset:40
	v_dual_mov_b32 v11, s5 :: v_dual_mov_b32 v10, s4
	s_wait_loadcnt 0x0
	v_and_b32_e32 v1, s5, v1
	v_and_b32_e32 v0, s4, v0
	s_delay_alu instid0(VALU_DEP_2) | instskip(NEXT) | instid1(VALU_DEP_2)
	v_mul_lo_u32 v1, 24, v1
	v_mul_lo_u32 v2, 0, v0
	v_mul_hi_u32 v3, 24, v0
	v_mul_lo_u32 v0, 24, v0
	s_delay_alu instid0(VALU_DEP_3) | instskip(NEXT) | instid1(VALU_DEP_2)
	v_add_nc_u32_e32 v1, v1, v2
	v_add_co_u32 v4, vcc_lo, v4, v0
	s_delay_alu instid0(VALU_DEP_2) | instskip(SKIP_1) | instid1(VALU_DEP_1)
	v_add_nc_u32_e32 v1, v1, v3
	s_wait_alu 0xfffd
	v_add_co_ci_u32_e64 v5, null, v5, v1, vcc_lo
	global_store_b64 v[4:5], v[12:13], off
	global_wb scope:SCOPE_SYS
	s_wait_storecnt 0x0
	global_atomic_cmpswap_b64 v[2:3], v6, v[10:13], s[2:3] offset:32 th:TH_ATOMIC_RETURN scope:SCOPE_SYS
	s_wait_loadcnt 0x0
	v_cmpx_ne_u64_e64 v[2:3], v[12:13]
	s_cbranch_execz .LBB6_2605
; %bb.2603:
	s_mov_b32 s7, 0
.LBB6_2604:                             ; =>This Inner Loop Header: Depth=1
	v_dual_mov_b32 v0, s4 :: v_dual_mov_b32 v1, s5
	s_sleep 1
	global_store_b64 v[4:5], v[2:3], off
	global_wb scope:SCOPE_SYS
	s_wait_storecnt 0x0
	global_atomic_cmpswap_b64 v[0:1], v6, v[0:3], s[2:3] offset:32 th:TH_ATOMIC_RETURN scope:SCOPE_SYS
	s_wait_loadcnt 0x0
	v_cmp_eq_u64_e32 vcc_lo, v[0:1], v[2:3]
	v_dual_mov_b32 v3, v1 :: v_dual_mov_b32 v2, v0
	s_wait_alu 0xfffe
	s_or_b32 s7, vcc_lo, s7
	s_wait_alu 0xfffe
	s_and_not1_b32 exec_lo, exec_lo, s7
	s_cbranch_execnz .LBB6_2604
.LBB6_2605:
	s_wait_alu 0xfffe
	s_or_b32 exec_lo, exec_lo, s6
	v_mov_b32_e32 v3, 0
	s_mov_b32 s7, exec_lo
	s_mov_b32 s6, exec_lo
	s_wait_alu 0xfffe
	v_mbcnt_lo_u32_b32 v2, s7, 0
	global_load_b64 v[0:1], v3, s[2:3] offset:16
	v_cmpx_eq_u32_e32 0, v2
	s_cbranch_execz .LBB6_2607
; %bb.2606:
	s_bcnt1_i32_b32 s7, s7
	s_wait_alu 0xfffe
	v_mov_b32_e32 v2, s7
	global_wb scope:SCOPE_SYS
	s_wait_loadcnt 0x0
	s_wait_storecnt 0x0
	global_atomic_add_u64 v[0:1], v[2:3], off offset:8 scope:SCOPE_SYS
.LBB6_2607:
	s_or_b32 exec_lo, exec_lo, s6
	s_wait_loadcnt 0x0
	global_load_b64 v[2:3], v[0:1], off offset:16
	s_wait_loadcnt 0x0
	v_cmp_eq_u64_e32 vcc_lo, 0, v[2:3]
	s_cbranch_vccnz .LBB6_2609
; %bb.2608:
	global_load_b32 v0, v[0:1], off offset:24
	v_mov_b32_e32 v1, 0
	s_wait_loadcnt 0x0
	v_readfirstlane_b32 s6, v0
	global_wb scope:SCOPE_SYS
	s_wait_storecnt 0x0
	global_store_b64 v[2:3], v[0:1], off scope:SCOPE_SYS
	s_and_b32 m0, s6, 0xffffff
	s_sendmsg sendmsg(MSG_INTERRUPT)
.LBB6_2609:
	s_wait_alu 0xfffe
	s_or_b32 exec_lo, exec_lo, s1
	s_branch .LBB6_2613
.LBB6_2610:                             ;   in Loop: Header=BB6_2613 Depth=1
	s_wait_alu 0xfffe
	s_or_b32 exec_lo, exec_lo, s1
	s_delay_alu instid0(VALU_DEP_1)
	v_readfirstlane_b32 s1, v0
	s_cmp_eq_u32 s1, 0
	s_cbranch_scc1 .LBB6_2612
; %bb.2611:                             ;   in Loop: Header=BB6_2613 Depth=1
	s_sleep 1
	s_cbranch_execnz .LBB6_2613
	s_branch .LBB6_2615
.LBB6_2612:
	s_branch .LBB6_2615
.LBB6_2613:                             ; =>This Inner Loop Header: Depth=1
	v_mov_b32_e32 v0, 1
	s_and_saveexec_b32 s1, s0
	s_cbranch_execz .LBB6_2610
; %bb.2614:                             ;   in Loop: Header=BB6_2613 Depth=1
	global_load_b32 v0, v[8:9], off offset:20 scope:SCOPE_SYS
	s_wait_loadcnt 0x0
	global_inv scope:SCOPE_SYS
	v_and_b32_e32 v0, 1, v0
	s_branch .LBB6_2610
.LBB6_2615:
	s_and_saveexec_b32 s6, s0
	s_cbranch_execz .LBB6_2619
; %bb.2616:
	v_mov_b32_e32 v6, 0
	s_clause 0x2
	global_load_b64 v[0:1], v6, s[2:3] offset:40
	global_load_b64 v[9:10], v6, s[2:3] offset:24 scope:SCOPE_SYS
	global_load_b64 v[2:3], v6, s[2:3]
	s_wait_loadcnt 0x2
	v_readfirstlane_b32 s8, v0
	v_readfirstlane_b32 s9, v1
	s_add_nc_u64 s[0:1], s[8:9], 1
	s_wait_alu 0xfffe
	s_add_nc_u64 s[4:5], s[0:1], s[4:5]
	s_wait_alu 0xfffe
	s_cmp_eq_u64 s[4:5], 0
	s_cselect_b32 s1, s1, s5
	s_cselect_b32 s0, s0, s4
	s_wait_alu 0xfffe
	v_mov_b32_e32 v8, s1
	s_and_b64 s[4:5], s[0:1], s[8:9]
	v_mov_b32_e32 v7, s0
	s_wait_alu 0xfffe
	s_mul_u64 s[4:5], s[4:5], 24
	s_wait_loadcnt 0x0
	s_wait_alu 0xfffe
	v_add_co_u32 v4, vcc_lo, v2, s4
	s_wait_alu 0xfffd
	v_add_co_ci_u32_e64 v5, null, s5, v3, vcc_lo
	global_store_b64 v[4:5], v[9:10], off
	global_wb scope:SCOPE_SYS
	s_wait_storecnt 0x0
	global_atomic_cmpswap_b64 v[2:3], v6, v[7:10], s[2:3] offset:24 th:TH_ATOMIC_RETURN scope:SCOPE_SYS
	s_wait_loadcnt 0x0
	v_cmp_ne_u64_e32 vcc_lo, v[2:3], v[9:10]
	s_and_b32 exec_lo, exec_lo, vcc_lo
	s_cbranch_execz .LBB6_2619
; %bb.2617:
	s_mov_b32 s4, 0
.LBB6_2618:                             ; =>This Inner Loop Header: Depth=1
	v_dual_mov_b32 v0, s0 :: v_dual_mov_b32 v1, s1
	s_sleep 1
	global_store_b64 v[4:5], v[2:3], off
	global_wb scope:SCOPE_SYS
	s_wait_storecnt 0x0
	global_atomic_cmpswap_b64 v[0:1], v6, v[0:3], s[2:3] offset:24 th:TH_ATOMIC_RETURN scope:SCOPE_SYS
	s_wait_loadcnt 0x0
	v_cmp_eq_u64_e32 vcc_lo, v[0:1], v[2:3]
	v_dual_mov_b32 v3, v1 :: v_dual_mov_b32 v2, v0
	s_wait_alu 0xfffe
	s_or_b32 s4, vcc_lo, s4
	s_wait_alu 0xfffe
	s_and_not1_b32 exec_lo, exec_lo, s4
	s_cbranch_execnz .LBB6_2618
.LBB6_2619:
	s_wait_alu 0xfffe
	s_or_b32 exec_lo, exec_lo, s6
.LBB6_2620:
	s_getpc_b64 s[0:1]
	s_wait_alu 0xfffe
	s_sext_i32_i16 s1, s1
	s_add_co_u32 s0, s0, .str.29@rel32@lo+12
	s_wait_alu 0xfffe
	s_add_co_ci_u32 s1, s1, .str.29@rel32@hi+24
	s_getpc_b64 s[2:3]
	s_wait_alu 0xfffe
	s_sext_i32_i16 s3, s3
	s_add_co_u32 s2, s2, .str.19@rel32@lo+12
	s_wait_alu 0xfffe
	s_add_co_ci_u32 s3, s3, .str.19@rel32@hi+24
	s_getpc_b64 s[4:5]
	s_wait_alu 0xfffe
	s_sext_i32_i16 s5, s5
	s_add_co_u32 s4, s4, __PRETTY_FUNCTION__._ZN7VecsMemIjLi8192EE5fetchEi@rel32@lo+12
	s_wait_alu 0xfffe
	s_add_co_ci_u32 s5, s5, __PRETTY_FUNCTION__._ZN7VecsMemIjLi8192EE5fetchEi@rel32@hi+24
	s_wait_loadcnt 0x0
	v_dual_mov_b32 v0, s0 :: v_dual_mov_b32 v1, s1
	v_dual_mov_b32 v2, s2 :: v_dual_mov_b32 v3, s3
	;; [unrolled: 1-line block ×3, first 2 shown]
	s_wait_alu 0xfffe
	v_mov_b32_e32 v6, s5
	s_getpc_b64 s[6:7]
	s_wait_alu 0xfffe
	s_sext_i32_i16 s7, s7
	s_add_co_u32 s6, s6, __assert_fail@rel32@lo+12
	s_wait_alu 0xfffe
	s_add_co_ci_u32 s7, s7, __assert_fail@rel32@hi+24
	s_mov_b64 s[8:9], s[52:53]
	s_wait_alu 0xfffe
	s_swappc_b64 s[30:31], s[6:7]
	s_or_b32 s18, s18, exec_lo
.LBB6_2621:
	s_wait_alu 0xfffe
	s_or_b32 exec_lo, exec_lo, s17
	s_and_saveexec_b32 s0, s25
	s_wait_alu 0xfffe
	s_xor_b32 s17, exec_lo, s0
	s_cbranch_execz .LBB6_2757
; %bb.2622:
	s_load_b64 s[2:3], s[52:53], 0x50
	v_mbcnt_lo_u32_b32 v31, -1, 0
	v_mov_b32_e32 v6, 0
	v_mov_b32_e32 v7, 0
	s_delay_alu instid0(VALU_DEP_3) | instskip(SKIP_1) | instid1(VALU_DEP_1)
	v_readfirstlane_b32 s0, v31
	s_wait_alu 0xf1ff
	v_cmp_eq_u32_e64 s0, s0, v31
	s_and_saveexec_b32 s1, s0
	s_cbranch_execz .LBB6_2628
; %bb.2623:
	v_mov_b32_e32 v0, 0
	s_mov_b32 s4, exec_lo
	s_wait_kmcnt 0x0
	global_load_b64 v[3:4], v0, s[2:3] offset:24 scope:SCOPE_SYS
	s_wait_loadcnt 0x0
	global_inv scope:SCOPE_SYS
	s_clause 0x1
	global_load_b64 v[1:2], v0, s[2:3] offset:40
	global_load_b64 v[5:6], v0, s[2:3]
	s_wait_loadcnt 0x1
	v_and_b32_e32 v2, v2, v4
	v_and_b32_e32 v1, v1, v3
	s_delay_alu instid0(VALU_DEP_2) | instskip(NEXT) | instid1(VALU_DEP_2)
	v_mul_lo_u32 v2, 24, v2
	v_mul_lo_u32 v7, 0, v1
	v_mul_hi_u32 v8, 24, v1
	v_mul_lo_u32 v1, 24, v1
	s_delay_alu instid0(VALU_DEP_3) | instskip(SKIP_1) | instid1(VALU_DEP_2)
	v_add_nc_u32_e32 v2, v2, v7
	s_wait_loadcnt 0x0
	v_add_co_u32 v1, vcc_lo, v5, v1
	s_delay_alu instid0(VALU_DEP_2) | instskip(SKIP_1) | instid1(VALU_DEP_1)
	v_add_nc_u32_e32 v2, v2, v8
	s_wait_alu 0xfffd
	v_add_co_ci_u32_e64 v2, null, v6, v2, vcc_lo
	global_load_b64 v[1:2], v[1:2], off scope:SCOPE_SYS
	s_wait_loadcnt 0x0
	global_atomic_cmpswap_b64 v[6:7], v0, v[1:4], s[2:3] offset:24 th:TH_ATOMIC_RETURN scope:SCOPE_SYS
	s_wait_loadcnt 0x0
	global_inv scope:SCOPE_SYS
	v_cmpx_ne_u64_e64 v[6:7], v[3:4]
	s_cbranch_execz .LBB6_2627
; %bb.2624:
	s_mov_b32 s5, 0
.LBB6_2625:                             ; =>This Inner Loop Header: Depth=1
	s_sleep 1
	s_clause 0x1
	global_load_b64 v[1:2], v0, s[2:3] offset:40
	global_load_b64 v[8:9], v0, s[2:3]
	v_dual_mov_b32 v3, v6 :: v_dual_mov_b32 v4, v7
	s_wait_loadcnt 0x1
	s_delay_alu instid0(VALU_DEP_1) | instskip(NEXT) | instid1(VALU_DEP_2)
	v_and_b32_e32 v1, v1, v3
	v_and_b32_e32 v2, v2, v4
	s_wait_loadcnt 0x0
	s_delay_alu instid0(VALU_DEP_2) | instskip(NEXT) | instid1(VALU_DEP_1)
	v_mad_co_u64_u32 v[5:6], null, v1, 24, v[8:9]
	v_mov_b32_e32 v1, v6
	s_delay_alu instid0(VALU_DEP_1) | instskip(NEXT) | instid1(VALU_DEP_1)
	v_mad_co_u64_u32 v[1:2], null, v2, 24, v[1:2]
	v_mov_b32_e32 v6, v1
	global_load_b64 v[1:2], v[5:6], off scope:SCOPE_SYS
	s_wait_loadcnt 0x0
	global_atomic_cmpswap_b64 v[6:7], v0, v[1:4], s[2:3] offset:24 th:TH_ATOMIC_RETURN scope:SCOPE_SYS
	s_wait_loadcnt 0x0
	global_inv scope:SCOPE_SYS
	v_cmp_eq_u64_e32 vcc_lo, v[6:7], v[3:4]
	s_wait_alu 0xfffe
	s_or_b32 s5, vcc_lo, s5
	s_wait_alu 0xfffe
	s_and_not1_b32 exec_lo, exec_lo, s5
	s_cbranch_execnz .LBB6_2625
; %bb.2626:
	s_or_b32 exec_lo, exec_lo, s5
.LBB6_2627:
	s_wait_alu 0xfffe
	s_or_b32 exec_lo, exec_lo, s4
.LBB6_2628:
	s_wait_alu 0xfffe
	s_or_b32 exec_lo, exec_lo, s1
	v_readfirstlane_b32 s4, v6
	v_mov_b32_e32 v5, 0
	v_readfirstlane_b32 s5, v7
	s_mov_b32 s1, exec_lo
	s_wait_kmcnt 0x0
	s_clause 0x1
	global_load_b64 v[8:9], v5, s[2:3] offset:40
	global_load_b128 v[0:3], v5, s[2:3]
	s_wait_loadcnt 0x1
	s_wait_alu 0xf1ff
	v_and_b32_e32 v11, s5, v9
	s_wait_dscnt 0x1
	v_and_b32_e32 v10, s4, v8
	s_delay_alu instid0(VALU_DEP_2) | instskip(NEXT) | instid1(VALU_DEP_2)
	v_mul_lo_u32 v4, 24, v11
	v_mul_lo_u32 v6, 0, v10
	v_mul_hi_u32 v7, 24, v10
	v_mul_lo_u32 v8, 24, v10
	s_delay_alu instid0(VALU_DEP_3) | instskip(SKIP_1) | instid1(VALU_DEP_2)
	v_add_nc_u32_e32 v4, v4, v6
	s_wait_loadcnt 0x0
	v_add_co_u32 v8, vcc_lo, v0, v8
	s_delay_alu instid0(VALU_DEP_2) | instskip(SKIP_1) | instid1(VALU_DEP_1)
	v_add_nc_u32_e32 v4, v4, v7
	s_wait_alu 0xfffd
	v_add_co_ci_u32_e64 v9, null, v1, v4, vcc_lo
	s_and_saveexec_b32 s6, s0
	s_cbranch_execz .LBB6_2630
; %bb.2629:
	s_wait_alu 0xfffe
	v_dual_mov_b32 v4, s1 :: v_dual_mov_b32 v7, 1
	v_mov_b32_e32 v6, 2
	global_store_b128 v[8:9], v[4:7], off offset:8
.LBB6_2630:
	s_wait_alu 0xfffe
	s_or_b32 exec_lo, exec_lo, s6
	v_lshlrev_b64_e32 v[10:11], 12, v[10:11]
	v_dual_mov_b32 v7, v5 :: v_dual_lshlrev_b32 v30, 6, v31
	s_mov_b32 s8, 0
	s_wait_alu 0xfffe
	s_mov_b32 s11, s8
	s_delay_alu instid0(VALU_DEP_2)
	v_add_co_u32 v2, vcc_lo, v2, v10
	s_wait_alu 0xfffd
	v_add_co_ci_u32_e64 v3, null, v3, v11, vcc_lo
	s_mov_b32 s9, s8
	v_add_co_u32 v10, vcc_lo, v2, v30
	s_mov_b32 s10, s8
	s_wait_alu 0xfffe
	v_dual_mov_b32 v4, 33 :: v_dual_mov_b32 v15, s11
	v_dual_mov_b32 v6, v5 :: v_dual_mov_b32 v13, s9
	v_readfirstlane_b32 s6, v2
	v_readfirstlane_b32 s7, v3
	s_wait_alu 0xfffd
	v_add_co_ci_u32_e64 v11, null, 0, v3, vcc_lo
	v_mov_b32_e32 v14, s10
	v_mov_b32_e32 v12, s8
	s_clause 0x3
	global_store_b128 v30, v[4:7], s[6:7]
	global_store_b128 v30, v[12:15], s[6:7] offset:16
	global_store_b128 v30, v[12:15], s[6:7] offset:32
	;; [unrolled: 1-line block ×3, first 2 shown]
	s_and_saveexec_b32 s1, s0
	s_cbranch_execz .LBB6_2638
; %bb.2631:
	v_mov_b32_e32 v6, 0
	s_mov_b32 s6, exec_lo
	s_clause 0x1
	global_load_b64 v[14:15], v6, s[2:3] offset:32 scope:SCOPE_SYS
	global_load_b64 v[2:3], v6, s[2:3] offset:40
	v_dual_mov_b32 v13, s5 :: v_dual_mov_b32 v12, s4
	s_wait_loadcnt 0x0
	v_and_b32_e32 v3, s5, v3
	v_and_b32_e32 v2, s4, v2
	s_delay_alu instid0(VALU_DEP_2) | instskip(NEXT) | instid1(VALU_DEP_2)
	v_mul_lo_u32 v3, 24, v3
	v_mul_lo_u32 v4, 0, v2
	v_mul_hi_u32 v5, 24, v2
	v_mul_lo_u32 v2, 24, v2
	s_delay_alu instid0(VALU_DEP_3) | instskip(NEXT) | instid1(VALU_DEP_2)
	v_add_nc_u32_e32 v3, v3, v4
	v_add_co_u32 v4, vcc_lo, v0, v2
	s_delay_alu instid0(VALU_DEP_2) | instskip(SKIP_1) | instid1(VALU_DEP_1)
	v_add_nc_u32_e32 v3, v3, v5
	s_wait_alu 0xfffd
	v_add_co_ci_u32_e64 v5, null, v1, v3, vcc_lo
	global_store_b64 v[4:5], v[14:15], off
	global_wb scope:SCOPE_SYS
	s_wait_storecnt 0x0
	global_atomic_cmpswap_b64 v[2:3], v6, v[12:15], s[2:3] offset:32 th:TH_ATOMIC_RETURN scope:SCOPE_SYS
	s_wait_loadcnt 0x0
	v_cmpx_ne_u64_e64 v[2:3], v[14:15]
	s_cbranch_execz .LBB6_2634
; %bb.2632:
	s_mov_b32 s7, 0
.LBB6_2633:                             ; =>This Inner Loop Header: Depth=1
	v_dual_mov_b32 v0, s4 :: v_dual_mov_b32 v1, s5
	s_sleep 1
	global_store_b64 v[4:5], v[2:3], off
	global_wb scope:SCOPE_SYS
	s_wait_storecnt 0x0
	global_atomic_cmpswap_b64 v[0:1], v6, v[0:3], s[2:3] offset:32 th:TH_ATOMIC_RETURN scope:SCOPE_SYS
	s_wait_loadcnt 0x0
	v_cmp_eq_u64_e32 vcc_lo, v[0:1], v[2:3]
	v_dual_mov_b32 v3, v1 :: v_dual_mov_b32 v2, v0
	s_wait_alu 0xfffe
	s_or_b32 s7, vcc_lo, s7
	s_wait_alu 0xfffe
	s_and_not1_b32 exec_lo, exec_lo, s7
	s_cbranch_execnz .LBB6_2633
.LBB6_2634:
	s_wait_alu 0xfffe
	s_or_b32 exec_lo, exec_lo, s6
	v_mov_b32_e32 v3, 0
	s_mov_b32 s7, exec_lo
	s_mov_b32 s6, exec_lo
	s_wait_alu 0xfffe
	v_mbcnt_lo_u32_b32 v2, s7, 0
	global_load_b64 v[0:1], v3, s[2:3] offset:16
	v_cmpx_eq_u32_e32 0, v2
	s_cbranch_execz .LBB6_2636
; %bb.2635:
	s_bcnt1_i32_b32 s7, s7
	s_wait_alu 0xfffe
	v_mov_b32_e32 v2, s7
	global_wb scope:SCOPE_SYS
	s_wait_loadcnt 0x0
	s_wait_storecnt 0x0
	global_atomic_add_u64 v[0:1], v[2:3], off offset:8 scope:SCOPE_SYS
.LBB6_2636:
	s_or_b32 exec_lo, exec_lo, s6
	s_wait_loadcnt 0x0
	global_load_b64 v[2:3], v[0:1], off offset:16
	s_wait_loadcnt 0x0
	v_cmp_eq_u64_e32 vcc_lo, 0, v[2:3]
	s_cbranch_vccnz .LBB6_2638
; %bb.2637:
	global_load_b32 v0, v[0:1], off offset:24
	v_mov_b32_e32 v1, 0
	s_wait_loadcnt 0x0
	v_readfirstlane_b32 s6, v0
	global_wb scope:SCOPE_SYS
	s_wait_storecnt 0x0
	global_store_b64 v[2:3], v[0:1], off scope:SCOPE_SYS
	s_and_b32 m0, s6, 0xffffff
	s_sendmsg sendmsg(MSG_INTERRUPT)
.LBB6_2638:
	s_wait_alu 0xfffe
	s_or_b32 exec_lo, exec_lo, s1
	s_branch .LBB6_2642
.LBB6_2639:                             ;   in Loop: Header=BB6_2642 Depth=1
	s_wait_alu 0xfffe
	s_or_b32 exec_lo, exec_lo, s1
	s_delay_alu instid0(VALU_DEP_1)
	v_readfirstlane_b32 s1, v0
	s_cmp_eq_u32 s1, 0
	s_cbranch_scc1 .LBB6_2641
; %bb.2640:                             ;   in Loop: Header=BB6_2642 Depth=1
	s_sleep 1
	s_cbranch_execnz .LBB6_2642
	s_branch .LBB6_2644
.LBB6_2641:
	s_branch .LBB6_2644
.LBB6_2642:                             ; =>This Inner Loop Header: Depth=1
	v_mov_b32_e32 v0, 1
	s_and_saveexec_b32 s1, s0
	s_cbranch_execz .LBB6_2639
; %bb.2643:                             ;   in Loop: Header=BB6_2642 Depth=1
	global_load_b32 v0, v[8:9], off offset:20 scope:SCOPE_SYS
	s_wait_loadcnt 0x0
	global_inv scope:SCOPE_SYS
	v_and_b32_e32 v0, 1, v0
	s_branch .LBB6_2639
.LBB6_2644:
	global_load_b64 v[0:1], v[10:11], off
	s_and_saveexec_b32 s6, s0
	s_cbranch_execz .LBB6_2648
; %bb.2645:
	v_mov_b32_e32 v8, 0
	s_clause 0x2
	global_load_b64 v[2:3], v8, s[2:3] offset:40
	global_load_b64 v[11:12], v8, s[2:3] offset:24 scope:SCOPE_SYS
	global_load_b64 v[4:5], v8, s[2:3]
	s_wait_loadcnt 0x2
	v_readfirstlane_b32 s8, v2
	v_readfirstlane_b32 s9, v3
	s_add_nc_u64 s[0:1], s[8:9], 1
	s_wait_alu 0xfffe
	s_add_nc_u64 s[4:5], s[0:1], s[4:5]
	s_wait_alu 0xfffe
	s_cmp_eq_u64 s[4:5], 0
	s_cselect_b32 s1, s1, s5
	s_cselect_b32 s0, s0, s4
	s_wait_alu 0xfffe
	v_mov_b32_e32 v10, s1
	s_and_b64 s[4:5], s[0:1], s[8:9]
	v_mov_b32_e32 v9, s0
	s_wait_alu 0xfffe
	s_mul_u64 s[4:5], s[4:5], 24
	s_wait_loadcnt 0x0
	s_wait_alu 0xfffe
	v_add_co_u32 v6, vcc_lo, v4, s4
	s_wait_alu 0xfffd
	v_add_co_ci_u32_e64 v7, null, s5, v5, vcc_lo
	global_store_b64 v[6:7], v[11:12], off
	global_wb scope:SCOPE_SYS
	s_wait_storecnt 0x0
	global_atomic_cmpswap_b64 v[4:5], v8, v[9:12], s[2:3] offset:24 th:TH_ATOMIC_RETURN scope:SCOPE_SYS
	s_wait_loadcnt 0x0
	v_cmp_ne_u64_e32 vcc_lo, v[4:5], v[11:12]
	s_and_b32 exec_lo, exec_lo, vcc_lo
	s_cbranch_execz .LBB6_2648
; %bb.2646:
	s_mov_b32 s4, 0
.LBB6_2647:                             ; =>This Inner Loop Header: Depth=1
	v_dual_mov_b32 v2, s0 :: v_dual_mov_b32 v3, s1
	s_sleep 1
	global_store_b64 v[6:7], v[4:5], off
	global_wb scope:SCOPE_SYS
	s_wait_storecnt 0x0
	global_atomic_cmpswap_b64 v[2:3], v8, v[2:5], s[2:3] offset:24 th:TH_ATOMIC_RETURN scope:SCOPE_SYS
	s_wait_loadcnt 0x0
	v_cmp_eq_u64_e32 vcc_lo, v[2:3], v[4:5]
	v_dual_mov_b32 v5, v3 :: v_dual_mov_b32 v4, v2
	s_wait_alu 0xfffe
	s_or_b32 s4, vcc_lo, s4
	s_wait_alu 0xfffe
	s_and_not1_b32 exec_lo, exec_lo, s4
	s_cbranch_execnz .LBB6_2647
.LBB6_2648:
	s_wait_alu 0xfffe
	s_or_b32 exec_lo, exec_lo, s6
	s_getpc_b64 s[4:5]
	s_wait_alu 0xfffe
	s_sext_i32_i16 s5, s5
	s_add_co_u32 s4, s4, .str.28@rel32@lo+12
	s_wait_alu 0xfffe
	s_add_co_ci_u32 s5, s5, .str.28@rel32@hi+24
	s_wait_alu 0xfffe
	s_cmp_lg_u64 s[4:5], 0
	s_cbranch_scc0 .LBB6_2727
; %bb.2649:
	s_wait_loadcnt 0x0
	v_dual_mov_b32 v7, v1 :: v_dual_and_b32 v6, -3, v0
	v_dual_mov_b32 v3, 0 :: v_dual_mov_b32 v4, 2
	v_mov_b32_e32 v5, 1
	s_mov_b64 s[6:7], 35
	s_branch .LBB6_2651
.LBB6_2650:                             ;   in Loop: Header=BB6_2651 Depth=1
	s_wait_alu 0xfffe
	s_or_b32 exec_lo, exec_lo, s12
	s_sub_nc_u64 s[6:7], s[6:7], s[8:9]
	s_add_nc_u64 s[4:5], s[4:5], s[8:9]
	s_wait_alu 0xfffe
	s_cmp_lg_u64 s[6:7], 0
	s_cbranch_scc0 .LBB6_2726
.LBB6_2651:                             ; =>This Loop Header: Depth=1
                                        ;     Child Loop BB6_2654 Depth 2
                                        ;     Child Loop BB6_2661 Depth 2
                                        ;     Child Loop BB6_2668 Depth 2
                                        ;     Child Loop BB6_2675 Depth 2
                                        ;     Child Loop BB6_2682 Depth 2
                                        ;     Child Loop BB6_2689 Depth 2
                                        ;     Child Loop BB6_2696 Depth 2
                                        ;     Child Loop BB6_2703 Depth 2
                                        ;     Child Loop BB6_2711 Depth 2
                                        ;     Child Loop BB6_2720 Depth 2
                                        ;     Child Loop BB6_2725 Depth 2
	s_wait_alu 0xfffe
	v_cmp_lt_u64_e64 s0, s[6:7], 56
	v_cmp_gt_u64_e64 s1, s[6:7], 7
	s_and_b32 s0, s0, exec_lo
	s_cselect_b32 s9, s7, 0
	s_cselect_b32 s8, s6, 56
	s_and_b32 vcc_lo, exec_lo, s1
	s_wait_alu 0xfffe
	s_cbranch_vccnz .LBB6_2656
; %bb.2652:                             ;   in Loop: Header=BB6_2651 Depth=1
	s_wait_loadcnt 0x0
	v_mov_b32_e32 v8, 0
	v_mov_b32_e32 v9, 0
	s_cmp_eq_u64 s[6:7], 0
	s_cbranch_scc1 .LBB6_2655
; %bb.2653:                             ;   in Loop: Header=BB6_2651 Depth=1
	s_mov_b64 s[0:1], 0
	s_mov_b64 s[10:11], 0
.LBB6_2654:                             ;   Parent Loop BB6_2651 Depth=1
                                        ; =>  This Inner Loop Header: Depth=2
	s_wait_alu 0xfffe
	s_add_nc_u64 s[12:13], s[4:5], s[10:11]
	s_add_nc_u64 s[10:11], s[10:11], 1
	global_load_u8 v2, v3, s[12:13]
	s_wait_alu 0xfffe
	s_cmp_lg_u32 s8, s10
	s_wait_loadcnt 0x0
	v_and_b32_e32 v2, 0xffff, v2
	s_delay_alu instid0(VALU_DEP_1) | instskip(SKIP_1) | instid1(VALU_DEP_1)
	v_lshlrev_b64_e32 v[10:11], s0, v[2:3]
	s_add_nc_u64 s[0:1], s[0:1], 8
	v_or_b32_e32 v8, v10, v8
	s_delay_alu instid0(VALU_DEP_2)
	v_or_b32_e32 v9, v11, v9
	s_cbranch_scc1 .LBB6_2654
.LBB6_2655:                             ;   in Loop: Header=BB6_2651 Depth=1
	s_mov_b64 s[10:11], s[4:5]
	s_mov_b32 s14, 0
	s_cbranch_execz .LBB6_2657
	s_branch .LBB6_2658
.LBB6_2656:                             ;   in Loop: Header=BB6_2651 Depth=1
	s_add_nc_u64 s[10:11], s[4:5], 8
	s_mov_b32 s14, 0
.LBB6_2657:                             ;   in Loop: Header=BB6_2651 Depth=1
	s_wait_loadcnt 0x0
	global_load_b64 v[8:9], v3, s[4:5]
	s_add_co_i32 s14, s8, -8
.LBB6_2658:                             ;   in Loop: Header=BB6_2651 Depth=1
	s_wait_alu 0xfffe
	s_cmp_gt_u32 s14, 7
	s_cbranch_scc1 .LBB6_2663
; %bb.2659:                             ;   in Loop: Header=BB6_2651 Depth=1
	v_mov_b32_e32 v10, 0
	v_mov_b32_e32 v11, 0
	s_cmp_eq_u32 s14, 0
	s_cbranch_scc1 .LBB6_2662
; %bb.2660:                             ;   in Loop: Header=BB6_2651 Depth=1
	s_mov_b64 s[0:1], 0
	s_mov_b64 s[12:13], 0
.LBB6_2661:                             ;   Parent Loop BB6_2651 Depth=1
                                        ; =>  This Inner Loop Header: Depth=2
	s_wait_alu 0xfffe
	s_add_nc_u64 s[22:23], s[10:11], s[12:13]
	s_add_nc_u64 s[12:13], s[12:13], 1
	global_load_u8 v2, v3, s[22:23]
	s_wait_alu 0xfffe
	s_cmp_lg_u32 s14, s12
	s_wait_loadcnt 0x0
	v_and_b32_e32 v2, 0xffff, v2
	s_delay_alu instid0(VALU_DEP_1) | instskip(SKIP_1) | instid1(VALU_DEP_1)
	v_lshlrev_b64_e32 v[12:13], s0, v[2:3]
	s_add_nc_u64 s[0:1], s[0:1], 8
	v_or_b32_e32 v10, v12, v10
	s_delay_alu instid0(VALU_DEP_2)
	v_or_b32_e32 v11, v13, v11
	s_cbranch_scc1 .LBB6_2661
.LBB6_2662:                             ;   in Loop: Header=BB6_2651 Depth=1
	s_mov_b64 s[0:1], s[10:11]
	s_mov_b32 s15, 0
	s_cbranch_execz .LBB6_2664
	s_branch .LBB6_2665
.LBB6_2663:                             ;   in Loop: Header=BB6_2651 Depth=1
	s_add_nc_u64 s[0:1], s[10:11], 8
                                        ; implicit-def: $vgpr10_vgpr11
	s_mov_b32 s15, 0
.LBB6_2664:                             ;   in Loop: Header=BB6_2651 Depth=1
	global_load_b64 v[10:11], v3, s[10:11]
	s_add_co_i32 s15, s14, -8
.LBB6_2665:                             ;   in Loop: Header=BB6_2651 Depth=1
	s_wait_alu 0xfffe
	s_cmp_gt_u32 s15, 7
	s_cbranch_scc1 .LBB6_2670
; %bb.2666:                             ;   in Loop: Header=BB6_2651 Depth=1
	v_mov_b32_e32 v12, 0
	v_mov_b32_e32 v13, 0
	s_cmp_eq_u32 s15, 0
	s_cbranch_scc1 .LBB6_2669
; %bb.2667:                             ;   in Loop: Header=BB6_2651 Depth=1
	s_mov_b64 s[10:11], 0
	s_mov_b64 s[12:13], 0
.LBB6_2668:                             ;   Parent Loop BB6_2651 Depth=1
                                        ; =>  This Inner Loop Header: Depth=2
	s_wait_alu 0xfffe
	s_add_nc_u64 s[22:23], s[0:1], s[12:13]
	s_add_nc_u64 s[12:13], s[12:13], 1
	global_load_u8 v2, v3, s[22:23]
	s_wait_alu 0xfffe
	s_cmp_lg_u32 s15, s12
	s_wait_loadcnt 0x0
	v_and_b32_e32 v2, 0xffff, v2
	s_delay_alu instid0(VALU_DEP_1) | instskip(SKIP_1) | instid1(VALU_DEP_1)
	v_lshlrev_b64_e32 v[14:15], s10, v[2:3]
	s_add_nc_u64 s[10:11], s[10:11], 8
	v_or_b32_e32 v12, v14, v12
	s_delay_alu instid0(VALU_DEP_2)
	v_or_b32_e32 v13, v15, v13
	s_cbranch_scc1 .LBB6_2668
.LBB6_2669:                             ;   in Loop: Header=BB6_2651 Depth=1
	s_mov_b64 s[10:11], s[0:1]
	s_mov_b32 s14, 0
	s_cbranch_execz .LBB6_2671
	s_branch .LBB6_2672
.LBB6_2670:                             ;   in Loop: Header=BB6_2651 Depth=1
	s_add_nc_u64 s[10:11], s[0:1], 8
	s_mov_b32 s14, 0
.LBB6_2671:                             ;   in Loop: Header=BB6_2651 Depth=1
	global_load_b64 v[12:13], v3, s[0:1]
	s_add_co_i32 s14, s15, -8
.LBB6_2672:                             ;   in Loop: Header=BB6_2651 Depth=1
	s_wait_alu 0xfffe
	s_cmp_gt_u32 s14, 7
	s_cbranch_scc1 .LBB6_2677
; %bb.2673:                             ;   in Loop: Header=BB6_2651 Depth=1
	v_mov_b32_e32 v14, 0
	v_mov_b32_e32 v15, 0
	s_cmp_eq_u32 s14, 0
	s_cbranch_scc1 .LBB6_2676
; %bb.2674:                             ;   in Loop: Header=BB6_2651 Depth=1
	s_mov_b64 s[0:1], 0
	s_mov_b64 s[12:13], 0
.LBB6_2675:                             ;   Parent Loop BB6_2651 Depth=1
                                        ; =>  This Inner Loop Header: Depth=2
	s_wait_alu 0xfffe
	s_add_nc_u64 s[22:23], s[10:11], s[12:13]
	s_add_nc_u64 s[12:13], s[12:13], 1
	global_load_u8 v2, v3, s[22:23]
	s_wait_alu 0xfffe
	s_cmp_lg_u32 s14, s12
	s_wait_loadcnt 0x0
	v_and_b32_e32 v2, 0xffff, v2
	s_delay_alu instid0(VALU_DEP_1) | instskip(SKIP_1) | instid1(VALU_DEP_1)
	v_lshlrev_b64_e32 v[16:17], s0, v[2:3]
	s_add_nc_u64 s[0:1], s[0:1], 8
	v_or_b32_e32 v14, v16, v14
	s_delay_alu instid0(VALU_DEP_2)
	v_or_b32_e32 v15, v17, v15
	s_cbranch_scc1 .LBB6_2675
.LBB6_2676:                             ;   in Loop: Header=BB6_2651 Depth=1
	s_mov_b64 s[0:1], s[10:11]
	s_mov_b32 s15, 0
	s_cbranch_execz .LBB6_2678
	s_branch .LBB6_2679
.LBB6_2677:                             ;   in Loop: Header=BB6_2651 Depth=1
	s_add_nc_u64 s[0:1], s[10:11], 8
                                        ; implicit-def: $vgpr14_vgpr15
	s_mov_b32 s15, 0
.LBB6_2678:                             ;   in Loop: Header=BB6_2651 Depth=1
	global_load_b64 v[14:15], v3, s[10:11]
	s_add_co_i32 s15, s14, -8
.LBB6_2679:                             ;   in Loop: Header=BB6_2651 Depth=1
	s_wait_alu 0xfffe
	s_cmp_gt_u32 s15, 7
	s_cbranch_scc1 .LBB6_2684
; %bb.2680:                             ;   in Loop: Header=BB6_2651 Depth=1
	v_mov_b32_e32 v16, 0
	v_mov_b32_e32 v17, 0
	s_cmp_eq_u32 s15, 0
	s_cbranch_scc1 .LBB6_2683
; %bb.2681:                             ;   in Loop: Header=BB6_2651 Depth=1
	s_mov_b64 s[10:11], 0
	s_mov_b64 s[12:13], 0
.LBB6_2682:                             ;   Parent Loop BB6_2651 Depth=1
                                        ; =>  This Inner Loop Header: Depth=2
	s_wait_alu 0xfffe
	s_add_nc_u64 s[22:23], s[0:1], s[12:13]
	s_add_nc_u64 s[12:13], s[12:13], 1
	global_load_u8 v2, v3, s[22:23]
	s_wait_alu 0xfffe
	s_cmp_lg_u32 s15, s12
	s_wait_loadcnt 0x0
	v_and_b32_e32 v2, 0xffff, v2
	s_delay_alu instid0(VALU_DEP_1) | instskip(SKIP_1) | instid1(VALU_DEP_1)
	v_lshlrev_b64_e32 v[18:19], s10, v[2:3]
	s_add_nc_u64 s[10:11], s[10:11], 8
	v_or_b32_e32 v16, v18, v16
	s_delay_alu instid0(VALU_DEP_2)
	v_or_b32_e32 v17, v19, v17
	s_cbranch_scc1 .LBB6_2682
.LBB6_2683:                             ;   in Loop: Header=BB6_2651 Depth=1
	s_mov_b64 s[10:11], s[0:1]
	s_mov_b32 s14, 0
	s_cbranch_execz .LBB6_2685
	s_branch .LBB6_2686
.LBB6_2684:                             ;   in Loop: Header=BB6_2651 Depth=1
	s_add_nc_u64 s[10:11], s[0:1], 8
	s_mov_b32 s14, 0
.LBB6_2685:                             ;   in Loop: Header=BB6_2651 Depth=1
	global_load_b64 v[16:17], v3, s[0:1]
	s_add_co_i32 s14, s15, -8
.LBB6_2686:                             ;   in Loop: Header=BB6_2651 Depth=1
	s_wait_alu 0xfffe
	s_cmp_gt_u32 s14, 7
	s_cbranch_scc1 .LBB6_2691
; %bb.2687:                             ;   in Loop: Header=BB6_2651 Depth=1
	v_mov_b32_e32 v18, 0
	v_mov_b32_e32 v19, 0
	s_cmp_eq_u32 s14, 0
	s_cbranch_scc1 .LBB6_2690
; %bb.2688:                             ;   in Loop: Header=BB6_2651 Depth=1
	s_mov_b64 s[0:1], 0
	s_mov_b64 s[12:13], 0
.LBB6_2689:                             ;   Parent Loop BB6_2651 Depth=1
                                        ; =>  This Inner Loop Header: Depth=2
	s_wait_alu 0xfffe
	s_add_nc_u64 s[22:23], s[10:11], s[12:13]
	s_add_nc_u64 s[12:13], s[12:13], 1
	global_load_u8 v2, v3, s[22:23]
	s_wait_alu 0xfffe
	s_cmp_lg_u32 s14, s12
	s_wait_loadcnt 0x0
	v_and_b32_e32 v2, 0xffff, v2
	s_delay_alu instid0(VALU_DEP_1) | instskip(SKIP_1) | instid1(VALU_DEP_1)
	v_lshlrev_b64_e32 v[20:21], s0, v[2:3]
	s_add_nc_u64 s[0:1], s[0:1], 8
	v_or_b32_e32 v18, v20, v18
	s_delay_alu instid0(VALU_DEP_2)
	v_or_b32_e32 v19, v21, v19
	s_cbranch_scc1 .LBB6_2689
.LBB6_2690:                             ;   in Loop: Header=BB6_2651 Depth=1
	s_mov_b64 s[0:1], s[10:11]
	s_mov_b32 s15, 0
	s_cbranch_execz .LBB6_2692
	s_branch .LBB6_2693
.LBB6_2691:                             ;   in Loop: Header=BB6_2651 Depth=1
	s_add_nc_u64 s[0:1], s[10:11], 8
                                        ; implicit-def: $vgpr18_vgpr19
	s_mov_b32 s15, 0
.LBB6_2692:                             ;   in Loop: Header=BB6_2651 Depth=1
	global_load_b64 v[18:19], v3, s[10:11]
	s_add_co_i32 s15, s14, -8
.LBB6_2693:                             ;   in Loop: Header=BB6_2651 Depth=1
	s_wait_alu 0xfffe
	s_cmp_gt_u32 s15, 7
	s_cbranch_scc1 .LBB6_2698
; %bb.2694:                             ;   in Loop: Header=BB6_2651 Depth=1
	v_mov_b32_e32 v20, 0
	v_mov_b32_e32 v21, 0
	s_cmp_eq_u32 s15, 0
	s_cbranch_scc1 .LBB6_2697
; %bb.2695:                             ;   in Loop: Header=BB6_2651 Depth=1
	s_mov_b64 s[10:11], 0
	s_mov_b64 s[12:13], s[0:1]
.LBB6_2696:                             ;   Parent Loop BB6_2651 Depth=1
                                        ; =>  This Inner Loop Header: Depth=2
	global_load_u8 v2, v3, s[12:13]
	s_add_co_i32 s15, s15, -1
	s_wait_alu 0xfffe
	s_add_nc_u64 s[12:13], s[12:13], 1
	s_cmp_lg_u32 s15, 0
	s_wait_loadcnt 0x0
	v_and_b32_e32 v2, 0xffff, v2
	s_delay_alu instid0(VALU_DEP_1) | instskip(SKIP_1) | instid1(VALU_DEP_1)
	v_lshlrev_b64_e32 v[22:23], s10, v[2:3]
	s_add_nc_u64 s[10:11], s[10:11], 8
	v_or_b32_e32 v20, v22, v20
	s_delay_alu instid0(VALU_DEP_2)
	v_or_b32_e32 v21, v23, v21
	s_cbranch_scc1 .LBB6_2696
.LBB6_2697:                             ;   in Loop: Header=BB6_2651 Depth=1
	s_cbranch_execz .LBB6_2699
	s_branch .LBB6_2700
.LBB6_2698:                             ;   in Loop: Header=BB6_2651 Depth=1
.LBB6_2699:                             ;   in Loop: Header=BB6_2651 Depth=1
	global_load_b64 v[20:21], v3, s[0:1]
.LBB6_2700:                             ;   in Loop: Header=BB6_2651 Depth=1
	v_readfirstlane_b32 s0, v31
	v_mov_b32_e32 v26, 0
	v_mov_b32_e32 v27, 0
	s_wait_alu 0xf1ff
	s_delay_alu instid0(VALU_DEP_3)
	v_cmp_eq_u32_e64 s0, s0, v31
	s_and_saveexec_b32 s1, s0
	s_cbranch_execz .LBB6_2706
; %bb.2701:                             ;   in Loop: Header=BB6_2651 Depth=1
	global_load_b64 v[24:25], v3, s[2:3] offset:24 scope:SCOPE_SYS
	s_wait_loadcnt 0x0
	global_inv scope:SCOPE_SYS
	s_clause 0x1
	global_load_b64 v[22:23], v3, s[2:3] offset:40
	global_load_b64 v[26:27], v3, s[2:3]
	s_mov_b32 s10, exec_lo
	s_wait_loadcnt 0x1
	v_and_b32_e32 v2, v23, v25
	v_and_b32_e32 v22, v22, v24
	s_delay_alu instid0(VALU_DEP_2) | instskip(NEXT) | instid1(VALU_DEP_2)
	v_mul_lo_u32 v2, 24, v2
	v_mul_lo_u32 v23, 0, v22
	v_mul_hi_u32 v28, 24, v22
	v_mul_lo_u32 v22, 24, v22
	s_delay_alu instid0(VALU_DEP_3) | instskip(SKIP_1) | instid1(VALU_DEP_2)
	v_add_nc_u32_e32 v2, v2, v23
	s_wait_loadcnt 0x0
	v_add_co_u32 v22, vcc_lo, v26, v22
	s_delay_alu instid0(VALU_DEP_2) | instskip(SKIP_1) | instid1(VALU_DEP_1)
	v_add_nc_u32_e32 v2, v2, v28
	s_wait_alu 0xfffd
	v_add_co_ci_u32_e64 v23, null, v27, v2, vcc_lo
	global_load_b64 v[22:23], v[22:23], off scope:SCOPE_SYS
	s_wait_loadcnt 0x0
	global_atomic_cmpswap_b64 v[26:27], v3, v[22:25], s[2:3] offset:24 th:TH_ATOMIC_RETURN scope:SCOPE_SYS
	s_wait_loadcnt 0x0
	global_inv scope:SCOPE_SYS
	v_cmpx_ne_u64_e64 v[26:27], v[24:25]
	s_cbranch_execz .LBB6_2705
; %bb.2702:                             ;   in Loop: Header=BB6_2651 Depth=1
	s_mov_b32 s11, 0
.LBB6_2703:                             ;   Parent Loop BB6_2651 Depth=1
                                        ; =>  This Inner Loop Header: Depth=2
	s_sleep 1
	s_clause 0x1
	global_load_b64 v[22:23], v3, s[2:3] offset:40
	global_load_b64 v[28:29], v3, s[2:3]
	v_dual_mov_b32 v24, v26 :: v_dual_mov_b32 v25, v27
	s_wait_loadcnt 0x1
	s_delay_alu instid0(VALU_DEP_1) | instskip(NEXT) | instid1(VALU_DEP_2)
	v_and_b32_e32 v2, v22, v24
	v_and_b32_e32 v22, v23, v25
	s_wait_loadcnt 0x0
	s_delay_alu instid0(VALU_DEP_2) | instskip(NEXT) | instid1(VALU_DEP_1)
	v_mad_co_u64_u32 v[26:27], null, v2, 24, v[28:29]
	v_mov_b32_e32 v2, v27
	s_delay_alu instid0(VALU_DEP_1) | instskip(NEXT) | instid1(VALU_DEP_1)
	v_mad_co_u64_u32 v[22:23], null, v22, 24, v[2:3]
	v_mov_b32_e32 v27, v22
	global_load_b64 v[22:23], v[26:27], off scope:SCOPE_SYS
	s_wait_loadcnt 0x0
	global_atomic_cmpswap_b64 v[26:27], v3, v[22:25], s[2:3] offset:24 th:TH_ATOMIC_RETURN scope:SCOPE_SYS
	s_wait_loadcnt 0x0
	global_inv scope:SCOPE_SYS
	v_cmp_eq_u64_e32 vcc_lo, v[26:27], v[24:25]
	s_wait_alu 0xfffe
	s_or_b32 s11, vcc_lo, s11
	s_wait_alu 0xfffe
	s_and_not1_b32 exec_lo, exec_lo, s11
	s_cbranch_execnz .LBB6_2703
; %bb.2704:                             ;   in Loop: Header=BB6_2651 Depth=1
	s_or_b32 exec_lo, exec_lo, s11
.LBB6_2705:                             ;   in Loop: Header=BB6_2651 Depth=1
	s_wait_alu 0xfffe
	s_or_b32 exec_lo, exec_lo, s10
.LBB6_2706:                             ;   in Loop: Header=BB6_2651 Depth=1
	s_wait_alu 0xfffe
	s_or_b32 exec_lo, exec_lo, s1
	s_clause 0x1
	global_load_b64 v[28:29], v3, s[2:3] offset:40
	global_load_b128 v[22:25], v3, s[2:3]
	v_readfirstlane_b32 s11, v27
	v_readfirstlane_b32 s10, v26
	s_mov_b32 s1, exec_lo
	s_wait_loadcnt 0x1
	s_wait_alu 0xf1ff
	v_and_b32_e32 v29, s11, v29
	v_and_b32_e32 v28, s10, v28
	s_delay_alu instid0(VALU_DEP_2) | instskip(NEXT) | instid1(VALU_DEP_2)
	v_mul_lo_u32 v2, 24, v29
	v_mul_lo_u32 v26, 0, v28
	v_mul_hi_u32 v27, 24, v28
	v_mul_lo_u32 v32, 24, v28
	s_delay_alu instid0(VALU_DEP_3) | instskip(SKIP_1) | instid1(VALU_DEP_2)
	v_add_nc_u32_e32 v2, v2, v26
	s_wait_loadcnt 0x0
	v_add_co_u32 v26, vcc_lo, v22, v32
	s_delay_alu instid0(VALU_DEP_2) | instskip(SKIP_1) | instid1(VALU_DEP_1)
	v_add_nc_u32_e32 v2, v2, v27
	s_wait_alu 0xfffd
	v_add_co_ci_u32_e64 v27, null, v23, v2, vcc_lo
	s_and_saveexec_b32 s12, s0
	s_cbranch_execz .LBB6_2708
; %bb.2707:                             ;   in Loop: Header=BB6_2651 Depth=1
	s_wait_alu 0xfffe
	v_mov_b32_e32 v2, s1
	global_store_b128 v[26:27], v[2:5], off offset:8
.LBB6_2708:                             ;   in Loop: Header=BB6_2651 Depth=1
	s_wait_alu 0xfffe
	s_or_b32 exec_lo, exec_lo, s12
	v_cmp_gt_u64_e64 s1, s[6:7], 56
	v_lshlrev_b64_e32 v[28:29], 12, v[28:29]
	v_and_b32_e32 v2, 0xffffff1f, v6
	s_and_b32 s1, s1, exec_lo
	s_delay_alu instid0(VALU_DEP_2)
	v_add_co_u32 v24, vcc_lo, v24, v28
	s_cselect_b32 s1, 0, 2
	s_wait_alu 0xfffd
	v_add_co_ci_u32_e64 v25, null, v25, v29, vcc_lo
	s_wait_alu 0xfffe
	v_or_b32_e32 v2, s1, v2
	s_lshl_b32 s12, s8, 2
	s_wait_alu 0xfffe
	s_add_co_i32 s1, s12, 28
	v_readfirstlane_b32 s12, v24
	v_readfirstlane_b32 s13, v25
	s_wait_alu 0xfffe
	v_and_or_b32 v6, 0x1e0, s1, v2
	s_clause 0x3
	global_store_b128 v30, v[6:9], s[12:13]
	global_store_b128 v30, v[10:13], s[12:13] offset:16
	global_store_b128 v30, v[14:17], s[12:13] offset:32
	;; [unrolled: 1-line block ×3, first 2 shown]
	s_and_saveexec_b32 s1, s0
	s_cbranch_execz .LBB6_2716
; %bb.2709:                             ;   in Loop: Header=BB6_2651 Depth=1
	s_clause 0x1
	global_load_b64 v[14:15], v3, s[2:3] offset:32 scope:SCOPE_SYS
	global_load_b64 v[6:7], v3, s[2:3] offset:40
	v_mov_b32_e32 v12, s10
	s_mov_b32 s12, exec_lo
	s_wait_loadcnt 0x0
	v_dual_mov_b32 v13, s11 :: v_dual_and_b32 v2, s11, v7
	v_and_b32_e32 v6, s10, v6
	s_delay_alu instid0(VALU_DEP_2) | instskip(NEXT) | instid1(VALU_DEP_2)
	v_mul_lo_u32 v2, 24, v2
	v_mul_lo_u32 v7, 0, v6
	v_mul_hi_u32 v8, 24, v6
	v_mul_lo_u32 v6, 24, v6
	s_delay_alu instid0(VALU_DEP_3) | instskip(NEXT) | instid1(VALU_DEP_2)
	v_add_nc_u32_e32 v2, v2, v7
	v_add_co_u32 v10, vcc_lo, v22, v6
	s_delay_alu instid0(VALU_DEP_2) | instskip(SKIP_1) | instid1(VALU_DEP_1)
	v_add_nc_u32_e32 v2, v2, v8
	s_wait_alu 0xfffd
	v_add_co_ci_u32_e64 v11, null, v23, v2, vcc_lo
	global_store_b64 v[10:11], v[14:15], off
	global_wb scope:SCOPE_SYS
	s_wait_storecnt 0x0
	global_atomic_cmpswap_b64 v[8:9], v3, v[12:15], s[2:3] offset:32 th:TH_ATOMIC_RETURN scope:SCOPE_SYS
	s_wait_loadcnt 0x0
	v_cmpx_ne_u64_e64 v[8:9], v[14:15]
	s_cbranch_execz .LBB6_2712
; %bb.2710:                             ;   in Loop: Header=BB6_2651 Depth=1
	s_mov_b32 s13, 0
.LBB6_2711:                             ;   Parent Loop BB6_2651 Depth=1
                                        ; =>  This Inner Loop Header: Depth=2
	v_dual_mov_b32 v6, s10 :: v_dual_mov_b32 v7, s11
	s_sleep 1
	global_store_b64 v[10:11], v[8:9], off
	global_wb scope:SCOPE_SYS
	s_wait_storecnt 0x0
	global_atomic_cmpswap_b64 v[6:7], v3, v[6:9], s[2:3] offset:32 th:TH_ATOMIC_RETURN scope:SCOPE_SYS
	s_wait_loadcnt 0x0
	v_cmp_eq_u64_e32 vcc_lo, v[6:7], v[8:9]
	v_dual_mov_b32 v9, v7 :: v_dual_mov_b32 v8, v6
	s_wait_alu 0xfffe
	s_or_b32 s13, vcc_lo, s13
	s_wait_alu 0xfffe
	s_and_not1_b32 exec_lo, exec_lo, s13
	s_cbranch_execnz .LBB6_2711
.LBB6_2712:                             ;   in Loop: Header=BB6_2651 Depth=1
	s_wait_alu 0xfffe
	s_or_b32 exec_lo, exec_lo, s12
	global_load_b64 v[6:7], v3, s[2:3] offset:16
	s_mov_b32 s13, exec_lo
	s_mov_b32 s12, exec_lo
	s_wait_alu 0xfffe
	v_mbcnt_lo_u32_b32 v2, s13, 0
	s_delay_alu instid0(VALU_DEP_1)
	v_cmpx_eq_u32_e32 0, v2
	s_cbranch_execz .LBB6_2714
; %bb.2713:                             ;   in Loop: Header=BB6_2651 Depth=1
	s_bcnt1_i32_b32 s13, s13
	s_wait_alu 0xfffe
	v_mov_b32_e32 v2, s13
	global_wb scope:SCOPE_SYS
	s_wait_loadcnt 0x0
	s_wait_storecnt 0x0
	global_atomic_add_u64 v[6:7], v[2:3], off offset:8 scope:SCOPE_SYS
.LBB6_2714:                             ;   in Loop: Header=BB6_2651 Depth=1
	s_or_b32 exec_lo, exec_lo, s12
	s_wait_loadcnt 0x0
	global_load_b64 v[8:9], v[6:7], off offset:16
	s_wait_loadcnt 0x0
	v_cmp_eq_u64_e32 vcc_lo, 0, v[8:9]
	s_cbranch_vccnz .LBB6_2716
; %bb.2715:                             ;   in Loop: Header=BB6_2651 Depth=1
	global_load_b32 v2, v[6:7], off offset:24
	s_wait_loadcnt 0x0
	v_readfirstlane_b32 s12, v2
	global_wb scope:SCOPE_SYS
	s_wait_storecnt 0x0
	global_store_b64 v[8:9], v[2:3], off scope:SCOPE_SYS
	s_and_b32 m0, s12, 0xffffff
	s_sendmsg sendmsg(MSG_INTERRUPT)
.LBB6_2716:                             ;   in Loop: Header=BB6_2651 Depth=1
	s_wait_alu 0xfffe
	s_or_b32 exec_lo, exec_lo, s1
	v_add_co_u32 v6, vcc_lo, v24, v30
	s_wait_alu 0xfffd
	v_add_co_ci_u32_e64 v7, null, 0, v25, vcc_lo
	s_branch .LBB6_2720
.LBB6_2717:                             ;   in Loop: Header=BB6_2720 Depth=2
	s_wait_alu 0xfffe
	s_or_b32 exec_lo, exec_lo, s1
	s_delay_alu instid0(VALU_DEP_1)
	v_readfirstlane_b32 s1, v2
	s_cmp_eq_u32 s1, 0
	s_cbranch_scc1 .LBB6_2719
; %bb.2718:                             ;   in Loop: Header=BB6_2720 Depth=2
	s_sleep 1
	s_cbranch_execnz .LBB6_2720
	s_branch .LBB6_2722
.LBB6_2719:                             ;   in Loop: Header=BB6_2651 Depth=1
	s_branch .LBB6_2722
.LBB6_2720:                             ;   Parent Loop BB6_2651 Depth=1
                                        ; =>  This Inner Loop Header: Depth=2
	v_mov_b32_e32 v2, 1
	s_and_saveexec_b32 s1, s0
	s_cbranch_execz .LBB6_2717
; %bb.2721:                             ;   in Loop: Header=BB6_2720 Depth=2
	global_load_b32 v2, v[26:27], off offset:20 scope:SCOPE_SYS
	s_wait_loadcnt 0x0
	global_inv scope:SCOPE_SYS
	v_and_b32_e32 v2, 1, v2
	s_branch .LBB6_2717
.LBB6_2722:                             ;   in Loop: Header=BB6_2651 Depth=1
	global_load_b128 v[6:9], v[6:7], off
	s_and_saveexec_b32 s12, s0
	s_cbranch_execz .LBB6_2650
; %bb.2723:                             ;   in Loop: Header=BB6_2651 Depth=1
	s_wait_loadcnt 0x0
	s_clause 0x2
	global_load_b64 v[8:9], v3, s[2:3] offset:40
	global_load_b64 v[16:17], v3, s[2:3] offset:24 scope:SCOPE_SYS
	global_load_b64 v[10:11], v3, s[2:3]
	s_wait_loadcnt 0x2
	v_readfirstlane_b32 s14, v8
	v_readfirstlane_b32 s15, v9
	s_add_nc_u64 s[0:1], s[14:15], 1
	s_wait_alu 0xfffe
	s_add_nc_u64 s[10:11], s[0:1], s[10:11]
	s_wait_alu 0xfffe
	s_cmp_eq_u64 s[10:11], 0
	s_cselect_b32 s1, s1, s11
	s_cselect_b32 s0, s0, s10
	s_wait_alu 0xfffe
	v_dual_mov_b32 v15, s1 :: v_dual_mov_b32 v14, s0
	s_and_b64 s[10:11], s[0:1], s[14:15]
	s_wait_alu 0xfffe
	s_mul_u64 s[10:11], s[10:11], 24
	s_wait_loadcnt 0x0
	s_wait_alu 0xfffe
	v_add_co_u32 v12, vcc_lo, v10, s10
	s_wait_alu 0xfffd
	v_add_co_ci_u32_e64 v13, null, s11, v11, vcc_lo
	global_store_b64 v[12:13], v[16:17], off
	global_wb scope:SCOPE_SYS
	s_wait_storecnt 0x0
	global_atomic_cmpswap_b64 v[10:11], v3, v[14:17], s[2:3] offset:24 th:TH_ATOMIC_RETURN scope:SCOPE_SYS
	s_wait_loadcnt 0x0
	v_cmp_ne_u64_e32 vcc_lo, v[10:11], v[16:17]
	s_and_b32 exec_lo, exec_lo, vcc_lo
	s_cbranch_execz .LBB6_2650
; %bb.2724:                             ;   in Loop: Header=BB6_2651 Depth=1
	s_mov_b32 s10, 0
.LBB6_2725:                             ;   Parent Loop BB6_2651 Depth=1
                                        ; =>  This Inner Loop Header: Depth=2
	v_dual_mov_b32 v8, s0 :: v_dual_mov_b32 v9, s1
	s_sleep 1
	global_store_b64 v[12:13], v[10:11], off
	global_wb scope:SCOPE_SYS
	s_wait_storecnt 0x0
	global_atomic_cmpswap_b64 v[8:9], v3, v[8:11], s[2:3] offset:24 th:TH_ATOMIC_RETURN scope:SCOPE_SYS
	s_wait_loadcnt 0x0
	v_cmp_eq_u64_e32 vcc_lo, v[8:9], v[10:11]
	v_dual_mov_b32 v11, v9 :: v_dual_mov_b32 v10, v8
	s_wait_alu 0xfffe
	s_or_b32 s10, vcc_lo, s10
	s_wait_alu 0xfffe
	s_and_not1_b32 exec_lo, exec_lo, s10
	s_cbranch_execnz .LBB6_2725
	s_branch .LBB6_2650
.LBB6_2726:
	s_mov_b32 s0, 0
	s_branch .LBB6_2728
.LBB6_2727:
	s_mov_b32 s0, -1
.LBB6_2728:
	s_wait_alu 0xfffe
	s_and_b32 vcc_lo, exec_lo, s0
	s_wait_alu 0xfffe
	s_cbranch_vccz .LBB6_2756
; %bb.2729:
	v_readfirstlane_b32 s0, v31
	s_wait_loadcnt 0x0
	v_mov_b32_e32 v8, 0
	v_mov_b32_e32 v9, 0
	s_wait_alu 0xf1ff
	v_cmp_eq_u32_e64 s0, s0, v31
	s_and_saveexec_b32 s1, s0
	s_cbranch_execz .LBB6_2735
; %bb.2730:
	v_mov_b32_e32 v2, 0
	s_mov_b32 s4, exec_lo
	global_load_b64 v[5:6], v2, s[2:3] offset:24 scope:SCOPE_SYS
	s_wait_loadcnt 0x0
	global_inv scope:SCOPE_SYS
	s_clause 0x1
	global_load_b64 v[3:4], v2, s[2:3] offset:40
	global_load_b64 v[7:8], v2, s[2:3]
	s_wait_loadcnt 0x1
	v_and_b32_e32 v4, v4, v6
	v_and_b32_e32 v3, v3, v5
	s_delay_alu instid0(VALU_DEP_2) | instskip(NEXT) | instid1(VALU_DEP_2)
	v_mul_lo_u32 v4, 24, v4
	v_mul_lo_u32 v9, 0, v3
	v_mul_hi_u32 v10, 24, v3
	v_mul_lo_u32 v3, 24, v3
	s_delay_alu instid0(VALU_DEP_3) | instskip(SKIP_1) | instid1(VALU_DEP_2)
	v_add_nc_u32_e32 v4, v4, v9
	s_wait_loadcnt 0x0
	v_add_co_u32 v3, vcc_lo, v7, v3
	s_delay_alu instid0(VALU_DEP_2) | instskip(SKIP_1) | instid1(VALU_DEP_1)
	v_add_nc_u32_e32 v4, v4, v10
	s_wait_alu 0xfffd
	v_add_co_ci_u32_e64 v4, null, v8, v4, vcc_lo
	global_load_b64 v[3:4], v[3:4], off scope:SCOPE_SYS
	s_wait_loadcnt 0x0
	global_atomic_cmpswap_b64 v[8:9], v2, v[3:6], s[2:3] offset:24 th:TH_ATOMIC_RETURN scope:SCOPE_SYS
	s_wait_loadcnt 0x0
	global_inv scope:SCOPE_SYS
	v_cmpx_ne_u64_e64 v[8:9], v[5:6]
	s_cbranch_execz .LBB6_2734
; %bb.2731:
	s_mov_b32 s5, 0
.LBB6_2732:                             ; =>This Inner Loop Header: Depth=1
	s_sleep 1
	s_clause 0x1
	global_load_b64 v[3:4], v2, s[2:3] offset:40
	global_load_b64 v[10:11], v2, s[2:3]
	v_dual_mov_b32 v5, v8 :: v_dual_mov_b32 v6, v9
	s_wait_loadcnt 0x1
	s_delay_alu instid0(VALU_DEP_1) | instskip(NEXT) | instid1(VALU_DEP_2)
	v_and_b32_e32 v3, v3, v5
	v_and_b32_e32 v4, v4, v6
	s_wait_loadcnt 0x0
	s_delay_alu instid0(VALU_DEP_2) | instskip(NEXT) | instid1(VALU_DEP_1)
	v_mad_co_u64_u32 v[7:8], null, v3, 24, v[10:11]
	v_mov_b32_e32 v3, v8
	s_delay_alu instid0(VALU_DEP_1) | instskip(NEXT) | instid1(VALU_DEP_1)
	v_mad_co_u64_u32 v[3:4], null, v4, 24, v[3:4]
	v_mov_b32_e32 v8, v3
	global_load_b64 v[3:4], v[7:8], off scope:SCOPE_SYS
	s_wait_loadcnt 0x0
	global_atomic_cmpswap_b64 v[8:9], v2, v[3:6], s[2:3] offset:24 th:TH_ATOMIC_RETURN scope:SCOPE_SYS
	s_wait_loadcnt 0x0
	global_inv scope:SCOPE_SYS
	v_cmp_eq_u64_e32 vcc_lo, v[8:9], v[5:6]
	s_wait_alu 0xfffe
	s_or_b32 s5, vcc_lo, s5
	s_wait_alu 0xfffe
	s_and_not1_b32 exec_lo, exec_lo, s5
	s_cbranch_execnz .LBB6_2732
; %bb.2733:
	s_or_b32 exec_lo, exec_lo, s5
.LBB6_2734:
	s_wait_alu 0xfffe
	s_or_b32 exec_lo, exec_lo, s4
.LBB6_2735:
	s_wait_alu 0xfffe
	s_or_b32 exec_lo, exec_lo, s1
	v_readfirstlane_b32 s5, v9
	v_mov_b32_e32 v2, 0
	v_readfirstlane_b32 s4, v8
	s_mov_b32 s1, exec_lo
	s_clause 0x1
	global_load_b64 v[10:11], v2, s[2:3] offset:40
	global_load_b128 v[4:7], v2, s[2:3]
	s_wait_loadcnt 0x1
	s_wait_alu 0xf1ff
	v_and_b32_e32 v11, s5, v11
	v_and_b32_e32 v10, s4, v10
	s_delay_alu instid0(VALU_DEP_2) | instskip(NEXT) | instid1(VALU_DEP_2)
	v_mul_lo_u32 v3, 24, v11
	v_mul_lo_u32 v8, 0, v10
	v_mul_hi_u32 v9, 24, v10
	v_mul_lo_u32 v12, 24, v10
	s_delay_alu instid0(VALU_DEP_3) | instskip(SKIP_1) | instid1(VALU_DEP_2)
	v_add_nc_u32_e32 v3, v3, v8
	s_wait_loadcnt 0x0
	v_add_co_u32 v8, vcc_lo, v4, v12
	s_delay_alu instid0(VALU_DEP_2) | instskip(SKIP_1) | instid1(VALU_DEP_1)
	v_add_nc_u32_e32 v3, v3, v9
	s_wait_alu 0xfffd
	v_add_co_ci_u32_e64 v9, null, v5, v3, vcc_lo
	s_and_saveexec_b32 s6, s0
	s_cbranch_execz .LBB6_2737
; %bb.2736:
	s_wait_alu 0xfffe
	v_dual_mov_b32 v12, s1 :: v_dual_mov_b32 v13, v2
	v_dual_mov_b32 v14, 2 :: v_dual_mov_b32 v15, 1
	global_store_b128 v[8:9], v[12:15], off offset:8
.LBB6_2737:
	s_wait_alu 0xfffe
	s_or_b32 exec_lo, exec_lo, s6
	v_lshlrev_b64_e32 v[10:11], 12, v[10:11]
	s_mov_b32 s8, 0
	v_and_or_b32 v0, 0xffffff1d, v0, 34
	s_wait_alu 0xfffe
	s_mov_b32 s11, s8
	s_mov_b32 s9, s8
	;; [unrolled: 1-line block ×3, first 2 shown]
	v_add_co_u32 v6, vcc_lo, v6, v10
	s_wait_alu 0xfffd
	v_add_co_ci_u32_e64 v7, null, v7, v11, vcc_lo
	v_mov_b32_e32 v3, v2
	s_delay_alu instid0(VALU_DEP_3)
	v_readfirstlane_b32 s6, v6
	s_wait_alu 0xfffe
	v_dual_mov_b32 v13, s11 :: v_dual_mov_b32 v10, s8
	v_readfirstlane_b32 s7, v7
	v_dual_mov_b32 v12, s10 :: v_dual_mov_b32 v11, s9
	s_clause 0x3
	global_store_b128 v30, v[0:3], s[6:7]
	global_store_b128 v30, v[10:13], s[6:7] offset:16
	global_store_b128 v30, v[10:13], s[6:7] offset:32
	;; [unrolled: 1-line block ×3, first 2 shown]
	s_and_saveexec_b32 s1, s0
	s_cbranch_execz .LBB6_2745
; %bb.2738:
	v_mov_b32_e32 v6, 0
	s_mov_b32 s6, exec_lo
	s_clause 0x1
	global_load_b64 v[12:13], v6, s[2:3] offset:32 scope:SCOPE_SYS
	global_load_b64 v[0:1], v6, s[2:3] offset:40
	v_dual_mov_b32 v11, s5 :: v_dual_mov_b32 v10, s4
	s_wait_loadcnt 0x0
	v_and_b32_e32 v1, s5, v1
	v_and_b32_e32 v0, s4, v0
	s_delay_alu instid0(VALU_DEP_2) | instskip(NEXT) | instid1(VALU_DEP_2)
	v_mul_lo_u32 v1, 24, v1
	v_mul_lo_u32 v2, 0, v0
	v_mul_hi_u32 v3, 24, v0
	v_mul_lo_u32 v0, 24, v0
	s_delay_alu instid0(VALU_DEP_3) | instskip(NEXT) | instid1(VALU_DEP_2)
	v_add_nc_u32_e32 v1, v1, v2
	v_add_co_u32 v4, vcc_lo, v4, v0
	s_delay_alu instid0(VALU_DEP_2) | instskip(SKIP_1) | instid1(VALU_DEP_1)
	v_add_nc_u32_e32 v1, v1, v3
	s_wait_alu 0xfffd
	v_add_co_ci_u32_e64 v5, null, v5, v1, vcc_lo
	global_store_b64 v[4:5], v[12:13], off
	global_wb scope:SCOPE_SYS
	s_wait_storecnt 0x0
	global_atomic_cmpswap_b64 v[2:3], v6, v[10:13], s[2:3] offset:32 th:TH_ATOMIC_RETURN scope:SCOPE_SYS
	s_wait_loadcnt 0x0
	v_cmpx_ne_u64_e64 v[2:3], v[12:13]
	s_cbranch_execz .LBB6_2741
; %bb.2739:
	s_mov_b32 s7, 0
.LBB6_2740:                             ; =>This Inner Loop Header: Depth=1
	v_dual_mov_b32 v0, s4 :: v_dual_mov_b32 v1, s5
	s_sleep 1
	global_store_b64 v[4:5], v[2:3], off
	global_wb scope:SCOPE_SYS
	s_wait_storecnt 0x0
	global_atomic_cmpswap_b64 v[0:1], v6, v[0:3], s[2:3] offset:32 th:TH_ATOMIC_RETURN scope:SCOPE_SYS
	s_wait_loadcnt 0x0
	v_cmp_eq_u64_e32 vcc_lo, v[0:1], v[2:3]
	v_dual_mov_b32 v3, v1 :: v_dual_mov_b32 v2, v0
	s_wait_alu 0xfffe
	s_or_b32 s7, vcc_lo, s7
	s_wait_alu 0xfffe
	s_and_not1_b32 exec_lo, exec_lo, s7
	s_cbranch_execnz .LBB6_2740
.LBB6_2741:
	s_wait_alu 0xfffe
	s_or_b32 exec_lo, exec_lo, s6
	v_mov_b32_e32 v3, 0
	s_mov_b32 s7, exec_lo
	s_mov_b32 s6, exec_lo
	s_wait_alu 0xfffe
	v_mbcnt_lo_u32_b32 v2, s7, 0
	global_load_b64 v[0:1], v3, s[2:3] offset:16
	v_cmpx_eq_u32_e32 0, v2
	s_cbranch_execz .LBB6_2743
; %bb.2742:
	s_bcnt1_i32_b32 s7, s7
	s_wait_alu 0xfffe
	v_mov_b32_e32 v2, s7
	global_wb scope:SCOPE_SYS
	s_wait_loadcnt 0x0
	s_wait_storecnt 0x0
	global_atomic_add_u64 v[0:1], v[2:3], off offset:8 scope:SCOPE_SYS
.LBB6_2743:
	s_or_b32 exec_lo, exec_lo, s6
	s_wait_loadcnt 0x0
	global_load_b64 v[2:3], v[0:1], off offset:16
	s_wait_loadcnt 0x0
	v_cmp_eq_u64_e32 vcc_lo, 0, v[2:3]
	s_cbranch_vccnz .LBB6_2745
; %bb.2744:
	global_load_b32 v0, v[0:1], off offset:24
	v_mov_b32_e32 v1, 0
	s_wait_loadcnt 0x0
	v_readfirstlane_b32 s6, v0
	global_wb scope:SCOPE_SYS
	s_wait_storecnt 0x0
	global_store_b64 v[2:3], v[0:1], off scope:SCOPE_SYS
	s_and_b32 m0, s6, 0xffffff
	s_sendmsg sendmsg(MSG_INTERRUPT)
.LBB6_2745:
	s_wait_alu 0xfffe
	s_or_b32 exec_lo, exec_lo, s1
	s_branch .LBB6_2749
.LBB6_2746:                             ;   in Loop: Header=BB6_2749 Depth=1
	s_wait_alu 0xfffe
	s_or_b32 exec_lo, exec_lo, s1
	s_delay_alu instid0(VALU_DEP_1)
	v_readfirstlane_b32 s1, v0
	s_cmp_eq_u32 s1, 0
	s_cbranch_scc1 .LBB6_2748
; %bb.2747:                             ;   in Loop: Header=BB6_2749 Depth=1
	s_sleep 1
	s_cbranch_execnz .LBB6_2749
	s_branch .LBB6_2751
.LBB6_2748:
	s_branch .LBB6_2751
.LBB6_2749:                             ; =>This Inner Loop Header: Depth=1
	v_mov_b32_e32 v0, 1
	s_and_saveexec_b32 s1, s0
	s_cbranch_execz .LBB6_2746
; %bb.2750:                             ;   in Loop: Header=BB6_2749 Depth=1
	global_load_b32 v0, v[8:9], off offset:20 scope:SCOPE_SYS
	s_wait_loadcnt 0x0
	global_inv scope:SCOPE_SYS
	v_and_b32_e32 v0, 1, v0
	s_branch .LBB6_2746
.LBB6_2751:
	s_and_saveexec_b32 s6, s0
	s_cbranch_execz .LBB6_2755
; %bb.2752:
	v_mov_b32_e32 v6, 0
	s_clause 0x2
	global_load_b64 v[0:1], v6, s[2:3] offset:40
	global_load_b64 v[9:10], v6, s[2:3] offset:24 scope:SCOPE_SYS
	global_load_b64 v[2:3], v6, s[2:3]
	s_wait_loadcnt 0x2
	v_readfirstlane_b32 s8, v0
	v_readfirstlane_b32 s9, v1
	s_add_nc_u64 s[0:1], s[8:9], 1
	s_wait_alu 0xfffe
	s_add_nc_u64 s[4:5], s[0:1], s[4:5]
	s_wait_alu 0xfffe
	s_cmp_eq_u64 s[4:5], 0
	s_cselect_b32 s1, s1, s5
	s_cselect_b32 s0, s0, s4
	s_wait_alu 0xfffe
	v_mov_b32_e32 v8, s1
	s_and_b64 s[4:5], s[0:1], s[8:9]
	v_mov_b32_e32 v7, s0
	s_wait_alu 0xfffe
	s_mul_u64 s[4:5], s[4:5], 24
	s_wait_loadcnt 0x0
	s_wait_alu 0xfffe
	v_add_co_u32 v4, vcc_lo, v2, s4
	s_wait_alu 0xfffd
	v_add_co_ci_u32_e64 v5, null, s5, v3, vcc_lo
	global_store_b64 v[4:5], v[9:10], off
	global_wb scope:SCOPE_SYS
	s_wait_storecnt 0x0
	global_atomic_cmpswap_b64 v[2:3], v6, v[7:10], s[2:3] offset:24 th:TH_ATOMIC_RETURN scope:SCOPE_SYS
	s_wait_loadcnt 0x0
	v_cmp_ne_u64_e32 vcc_lo, v[2:3], v[9:10]
	s_and_b32 exec_lo, exec_lo, vcc_lo
	s_cbranch_execz .LBB6_2755
; %bb.2753:
	s_mov_b32 s4, 0
.LBB6_2754:                             ; =>This Inner Loop Header: Depth=1
	v_dual_mov_b32 v0, s0 :: v_dual_mov_b32 v1, s1
	s_sleep 1
	global_store_b64 v[4:5], v[2:3], off
	global_wb scope:SCOPE_SYS
	s_wait_storecnt 0x0
	global_atomic_cmpswap_b64 v[0:1], v6, v[0:3], s[2:3] offset:24 th:TH_ATOMIC_RETURN scope:SCOPE_SYS
	s_wait_loadcnt 0x0
	v_cmp_eq_u64_e32 vcc_lo, v[0:1], v[2:3]
	v_dual_mov_b32 v3, v1 :: v_dual_mov_b32 v2, v0
	s_wait_alu 0xfffe
	s_or_b32 s4, vcc_lo, s4
	s_wait_alu 0xfffe
	s_and_not1_b32 exec_lo, exec_lo, s4
	s_cbranch_execnz .LBB6_2754
.LBB6_2755:
	s_wait_alu 0xfffe
	s_or_b32 exec_lo, exec_lo, s6
.LBB6_2756:
	s_getpc_b64 s[0:1]
	s_wait_alu 0xfffe
	s_sext_i32_i16 s1, s1
	s_add_co_u32 s0, s0, .str.29@rel32@lo+12
	s_wait_alu 0xfffe
	s_add_co_ci_u32 s1, s1, .str.29@rel32@hi+24
	s_getpc_b64 s[2:3]
	s_wait_alu 0xfffe
	s_sext_i32_i16 s3, s3
	s_add_co_u32 s2, s2, .str.19@rel32@lo+12
	s_wait_alu 0xfffe
	s_add_co_ci_u32 s3, s3, .str.19@rel32@hi+24
	s_getpc_b64 s[4:5]
	s_wait_alu 0xfffe
	s_sext_i32_i16 s5, s5
	s_add_co_u32 s4, s4, __PRETTY_FUNCTION__._ZN7VecsMemIjLi8192EE5fetchEi@rel32@lo+12
	s_wait_alu 0xfffe
	s_add_co_ci_u32 s5, s5, __PRETTY_FUNCTION__._ZN7VecsMemIjLi8192EE5fetchEi@rel32@hi+24
	s_wait_loadcnt 0x0
	v_dual_mov_b32 v0, s0 :: v_dual_mov_b32 v1, s1
	v_dual_mov_b32 v2, s2 :: v_dual_mov_b32 v3, s3
	;; [unrolled: 1-line block ×3, first 2 shown]
	s_wait_alu 0xfffe
	v_mov_b32_e32 v6, s5
	s_getpc_b64 s[6:7]
	s_wait_alu 0xfffe
	s_sext_i32_i16 s7, s7
	s_add_co_u32 s6, s6, __assert_fail@rel32@lo+12
	s_wait_alu 0xfffe
	s_add_co_ci_u32 s7, s7, __assert_fail@rel32@hi+24
	s_mov_b64 s[8:9], s[52:53]
	s_wait_alu 0xfffe
	s_swappc_b64 s[30:31], s[6:7]
	s_or_b32 s18, s18, exec_lo
.LBB6_2757:
	s_wait_alu 0xfffe
	s_or_b32 exec_lo, exec_lo, s17
	s_delay_alu instid0(SALU_CYCLE_1)
	s_and_not1_b32 s0, s64, exec_lo
	s_and_b32 s1, s18, exec_lo
	s_wait_alu 0xfffe
	s_or_b32 s17, s0, s1
.LBB6_2758:
	s_wait_alu 0xfffe
	s_and_not1_saveexec_b32 s18, s21
	s_cbranch_execz .LBB6_2760
; %bb.2759:
	s_getpc_b64 s[0:1]
	s_wait_alu 0xfffe
	s_sext_i32_i16 s1, s1
	s_add_co_u32 s0, s0, .str.38@rel32@lo+12
	s_wait_alu 0xfffe
	s_add_co_ci_u32 s1, s1, .str.38@rel32@hi+24
	s_getpc_b64 s[2:3]
	s_wait_alu 0xfffe
	s_sext_i32_i16 s3, s3
	s_add_co_u32 s2, s2, .str.31@rel32@lo+12
	s_wait_alu 0xfffe
	s_add_co_ci_u32 s3, s3, .str.31@rel32@hi+24
	s_getpc_b64 s[4:5]
	s_wait_alu 0xfffe
	s_sext_i32_i16 s5, s5
	s_add_co_u32 s4, s4, __PRETTY_FUNCTION__._ZN3sop17sopDivideInternalEPNS_3SopES1_S1_S1_P7VecsMemIjLi8192EE@rel32@lo+12
	s_wait_alu 0xfffe
	s_add_co_ci_u32 s5, s5, __PRETTY_FUNCTION__._ZN3sop17sopDivideInternalEPNS_3SopES1_S1_S1_P7VecsMemIjLi8192EE@rel32@hi+24
	v_dual_mov_b32 v0, s0 :: v_dual_mov_b32 v1, s1
	v_dual_mov_b32 v2, s2 :: v_dual_mov_b32 v3, s3
	;; [unrolled: 1-line block ×3, first 2 shown]
	s_wait_alu 0xfffe
	v_mov_b32_e32 v6, s5
	s_getpc_b64 s[6:7]
	s_wait_alu 0xfffe
	s_sext_i32_i16 s7, s7
	s_add_co_u32 s6, s6, __assert_fail@rel32@lo+12
	s_wait_alu 0xfffe
	s_add_co_ci_u32 s7, s7, __assert_fail@rel32@hi+24
	s_mov_b64 s[8:9], s[52:53]
	s_wait_alu 0xfffc
	s_swappc_b64 s[30:31], s[6:7]
	s_or_b32 s17, s17, exec_lo
.LBB6_2760:
	s_wait_alu 0xfffe
	s_or_b32 exec_lo, exec_lo, s18
	s_delay_alu instid0(SALU_CYCLE_1)
	s_and_not1_b32 s0, s64, exec_lo
	s_and_b32 s1, s17, exec_lo
                                        ; implicit-def: $vgpr54_vgpr55
                                        ; implicit-def: $vgpr42
                                        ; implicit-def: $vgpr47
	s_wait_alu 0xfffe
	s_or_b32 s67, s0, s1
.LBB6_2761:
	s_wait_alu 0xfffe
	s_and_not1_saveexec_b32 s68, s20
	s_cbranch_execz .LBB6_2763
; %bb.2762:
	flat_load_b96 v[5:7], v[54:55] offset:4
	v_dual_mov_b32 v3, v47 :: v_dual_mov_b32 v4, v42
	s_getpc_b64 s[0:1]
	s_wait_alu 0xfffe
	s_sext_i32_i16 s1, s1
	s_add_co_u32 s0, s0, _ZN3sop19sopFactorTrivialRecEPjiiPN8subgUtil4SubgILi256EEE@rel32@lo+12
	s_wait_alu 0xfffe
	s_add_co_ci_u32 s1, s1, _ZN3sop19sopFactorTrivialRecEPjiiPN8subgUtil4SubgILi256EEE@rel32@hi+24
	s_mov_b64 s[8:9], s[52:53]
	s_wait_loadcnt_dscnt 0x0
	v_dual_mov_b32 v0, v6 :: v_dual_mov_b32 v1, v7
	v_dual_mov_b32 v2, v5 :: v_dual_mov_b32 v5, v43
	s_wait_alu 0xfffc
	s_swappc_b64 s[30:31], s[0:1]
	s_delay_alu instid0(VALU_DEP_2)
	v_mov_b32_e32 v41, v0
.LBB6_2763:
	s_wait_alu 0xfffe
	s_or_b32 exec_lo, exec_lo, s68
	s_delay_alu instid0(SALU_CYCLE_1)
	s_and_not1_b32 s0, s64, exec_lo
	s_and_b32 s1, s67, exec_lo
	s_wait_alu 0xfffe
	s_or_b32 s64, s0, s1
.LBB6_2764:
	s_wait_alu 0xfffe
	s_or_b32 exec_lo, exec_lo, s66
	s_and_saveexec_b32 s0, s65
	s_wait_alu 0xfffe
	s_xor_b32 s17, exec_lo, s0
	s_cbranch_execz .LBB6_2899
; %bb.2765:
	s_load_b64 s[2:3], s[52:53], 0x50
	v_mbcnt_lo_u32_b32 v31, -1, 0
	v_mov_b32_e32 v6, 0
	v_mov_b32_e32 v7, 0
	s_delay_alu instid0(VALU_DEP_3) | instskip(SKIP_1) | instid1(VALU_DEP_1)
	v_readfirstlane_b32 s0, v31
	s_wait_alu 0xf1ff
	v_cmp_eq_u32_e64 s0, s0, v31
	s_and_saveexec_b32 s1, s0
	s_cbranch_execz .LBB6_2771
; %bb.2766:
	v_mov_b32_e32 v0, 0
	s_mov_b32 s4, exec_lo
	s_wait_kmcnt 0x0
	global_load_b64 v[3:4], v0, s[2:3] offset:24 scope:SCOPE_SYS
	s_wait_loadcnt 0x0
	global_inv scope:SCOPE_SYS
	s_clause 0x1
	global_load_b64 v[1:2], v0, s[2:3] offset:40
	global_load_b64 v[5:6], v0, s[2:3]
	s_wait_loadcnt 0x1
	v_and_b32_e32 v2, v2, v4
	v_and_b32_e32 v1, v1, v3
	s_delay_alu instid0(VALU_DEP_2) | instskip(NEXT) | instid1(VALU_DEP_2)
	v_mul_lo_u32 v2, 24, v2
	v_mul_lo_u32 v7, 0, v1
	v_mul_hi_u32 v8, 24, v1
	v_mul_lo_u32 v1, 24, v1
	s_delay_alu instid0(VALU_DEP_3) | instskip(SKIP_1) | instid1(VALU_DEP_2)
	v_add_nc_u32_e32 v2, v2, v7
	s_wait_loadcnt 0x0
	v_add_co_u32 v1, vcc_lo, v5, v1
	s_delay_alu instid0(VALU_DEP_2) | instskip(SKIP_1) | instid1(VALU_DEP_1)
	v_add_nc_u32_e32 v2, v2, v8
	s_wait_alu 0xfffd
	v_add_co_ci_u32_e64 v2, null, v6, v2, vcc_lo
	global_load_b64 v[1:2], v[1:2], off scope:SCOPE_SYS
	s_wait_loadcnt 0x0
	global_atomic_cmpswap_b64 v[6:7], v0, v[1:4], s[2:3] offset:24 th:TH_ATOMIC_RETURN scope:SCOPE_SYS
	s_wait_loadcnt 0x0
	global_inv scope:SCOPE_SYS
	v_cmpx_ne_u64_e64 v[6:7], v[3:4]
	s_cbranch_execz .LBB6_2770
; %bb.2767:
	s_mov_b32 s5, 0
.LBB6_2768:                             ; =>This Inner Loop Header: Depth=1
	s_sleep 1
	s_clause 0x1
	global_load_b64 v[1:2], v0, s[2:3] offset:40
	global_load_b64 v[8:9], v0, s[2:3]
	v_dual_mov_b32 v3, v6 :: v_dual_mov_b32 v4, v7
	s_wait_loadcnt 0x1
	s_delay_alu instid0(VALU_DEP_1) | instskip(NEXT) | instid1(VALU_DEP_2)
	v_and_b32_e32 v1, v1, v3
	v_and_b32_e32 v2, v2, v4
	s_wait_loadcnt 0x0
	s_delay_alu instid0(VALU_DEP_2) | instskip(NEXT) | instid1(VALU_DEP_1)
	v_mad_co_u64_u32 v[5:6], null, v1, 24, v[8:9]
	v_mov_b32_e32 v1, v6
	s_delay_alu instid0(VALU_DEP_1) | instskip(NEXT) | instid1(VALU_DEP_1)
	v_mad_co_u64_u32 v[1:2], null, v2, 24, v[1:2]
	v_mov_b32_e32 v6, v1
	global_load_b64 v[1:2], v[5:6], off scope:SCOPE_SYS
	s_wait_loadcnt 0x0
	global_atomic_cmpswap_b64 v[6:7], v0, v[1:4], s[2:3] offset:24 th:TH_ATOMIC_RETURN scope:SCOPE_SYS
	s_wait_loadcnt 0x0
	global_inv scope:SCOPE_SYS
	v_cmp_eq_u64_e32 vcc_lo, v[6:7], v[3:4]
	s_wait_alu 0xfffe
	s_or_b32 s5, vcc_lo, s5
	s_wait_alu 0xfffe
	s_and_not1_b32 exec_lo, exec_lo, s5
	s_cbranch_execnz .LBB6_2768
; %bb.2769:
	s_or_b32 exec_lo, exec_lo, s5
.LBB6_2770:
	s_wait_alu 0xfffe
	s_or_b32 exec_lo, exec_lo, s4
.LBB6_2771:
	s_wait_alu 0xfffe
	s_or_b32 exec_lo, exec_lo, s1
	v_readfirstlane_b32 s4, v6
	v_mov_b32_e32 v5, 0
	v_readfirstlane_b32 s5, v7
	s_mov_b32 s1, exec_lo
	s_wait_kmcnt 0x0
	s_clause 0x1
	global_load_b64 v[8:9], v5, s[2:3] offset:40
	global_load_b128 v[0:3], v5, s[2:3]
	s_wait_loadcnt 0x1
	s_wait_alu 0xf1ff
	v_and_b32_e32 v11, s5, v9
	s_wait_dscnt 0x1
	v_and_b32_e32 v10, s4, v8
	s_delay_alu instid0(VALU_DEP_2) | instskip(NEXT) | instid1(VALU_DEP_2)
	v_mul_lo_u32 v4, 24, v11
	v_mul_lo_u32 v6, 0, v10
	v_mul_hi_u32 v7, 24, v10
	v_mul_lo_u32 v8, 24, v10
	s_delay_alu instid0(VALU_DEP_3) | instskip(SKIP_1) | instid1(VALU_DEP_2)
	v_add_nc_u32_e32 v4, v4, v6
	s_wait_loadcnt 0x0
	v_add_co_u32 v8, vcc_lo, v0, v8
	s_delay_alu instid0(VALU_DEP_2) | instskip(SKIP_1) | instid1(VALU_DEP_1)
	v_add_nc_u32_e32 v4, v4, v7
	s_wait_alu 0xfffd
	v_add_co_ci_u32_e64 v9, null, v1, v4, vcc_lo
	s_and_saveexec_b32 s6, s0
	s_cbranch_execz .LBB6_2773
; %bb.2772:
	s_wait_alu 0xfffe
	v_dual_mov_b32 v4, s1 :: v_dual_mov_b32 v7, 1
	v_mov_b32_e32 v6, 2
	global_store_b128 v[8:9], v[4:7], off offset:8
.LBB6_2773:
	s_wait_alu 0xfffe
	s_or_b32 exec_lo, exec_lo, s6
	v_lshlrev_b64_e32 v[10:11], 12, v[10:11]
	v_dual_mov_b32 v7, v5 :: v_dual_lshlrev_b32 v30, 6, v31
	s_mov_b32 s8, 0
	s_wait_alu 0xfffe
	s_mov_b32 s11, s8
	s_delay_alu instid0(VALU_DEP_2)
	v_add_co_u32 v2, vcc_lo, v2, v10
	s_wait_alu 0xfffd
	v_add_co_ci_u32_e64 v3, null, v3, v11, vcc_lo
	s_mov_b32 s9, s8
	v_add_co_u32 v10, vcc_lo, v2, v30
	s_mov_b32 s10, s8
	s_wait_alu 0xfffe
	v_dual_mov_b32 v4, 33 :: v_dual_mov_b32 v15, s11
	v_dual_mov_b32 v6, v5 :: v_dual_mov_b32 v13, s9
	v_readfirstlane_b32 s6, v2
	v_readfirstlane_b32 s7, v3
	s_wait_alu 0xfffd
	v_add_co_ci_u32_e64 v11, null, 0, v3, vcc_lo
	v_mov_b32_e32 v14, s10
	v_mov_b32_e32 v12, s8
	s_clause 0x3
	global_store_b128 v30, v[4:7], s[6:7]
	global_store_b128 v30, v[12:15], s[6:7] offset:16
	global_store_b128 v30, v[12:15], s[6:7] offset:32
	;; [unrolled: 1-line block ×3, first 2 shown]
	s_and_saveexec_b32 s1, s0
	s_cbranch_execz .LBB6_2781
; %bb.2774:
	v_mov_b32_e32 v6, 0
	s_mov_b32 s6, exec_lo
	s_clause 0x1
	global_load_b64 v[14:15], v6, s[2:3] offset:32 scope:SCOPE_SYS
	global_load_b64 v[2:3], v6, s[2:3] offset:40
	v_dual_mov_b32 v13, s5 :: v_dual_mov_b32 v12, s4
	s_wait_loadcnt 0x0
	v_and_b32_e32 v3, s5, v3
	v_and_b32_e32 v2, s4, v2
	s_delay_alu instid0(VALU_DEP_2) | instskip(NEXT) | instid1(VALU_DEP_2)
	v_mul_lo_u32 v3, 24, v3
	v_mul_lo_u32 v4, 0, v2
	v_mul_hi_u32 v5, 24, v2
	v_mul_lo_u32 v2, 24, v2
	s_delay_alu instid0(VALU_DEP_3) | instskip(NEXT) | instid1(VALU_DEP_2)
	v_add_nc_u32_e32 v3, v3, v4
	v_add_co_u32 v4, vcc_lo, v0, v2
	s_delay_alu instid0(VALU_DEP_2) | instskip(SKIP_1) | instid1(VALU_DEP_1)
	v_add_nc_u32_e32 v3, v3, v5
	s_wait_alu 0xfffd
	v_add_co_ci_u32_e64 v5, null, v1, v3, vcc_lo
	global_store_b64 v[4:5], v[14:15], off
	global_wb scope:SCOPE_SYS
	s_wait_storecnt 0x0
	global_atomic_cmpswap_b64 v[2:3], v6, v[12:15], s[2:3] offset:32 th:TH_ATOMIC_RETURN scope:SCOPE_SYS
	s_wait_loadcnt 0x0
	v_cmpx_ne_u64_e64 v[2:3], v[14:15]
	s_cbranch_execz .LBB6_2777
; %bb.2775:
	s_mov_b32 s7, 0
.LBB6_2776:                             ; =>This Inner Loop Header: Depth=1
	v_dual_mov_b32 v0, s4 :: v_dual_mov_b32 v1, s5
	s_sleep 1
	global_store_b64 v[4:5], v[2:3], off
	global_wb scope:SCOPE_SYS
	s_wait_storecnt 0x0
	global_atomic_cmpswap_b64 v[0:1], v6, v[0:3], s[2:3] offset:32 th:TH_ATOMIC_RETURN scope:SCOPE_SYS
	s_wait_loadcnt 0x0
	v_cmp_eq_u64_e32 vcc_lo, v[0:1], v[2:3]
	v_dual_mov_b32 v3, v1 :: v_dual_mov_b32 v2, v0
	s_wait_alu 0xfffe
	s_or_b32 s7, vcc_lo, s7
	s_wait_alu 0xfffe
	s_and_not1_b32 exec_lo, exec_lo, s7
	s_cbranch_execnz .LBB6_2776
.LBB6_2777:
	s_wait_alu 0xfffe
	s_or_b32 exec_lo, exec_lo, s6
	v_mov_b32_e32 v3, 0
	s_mov_b32 s7, exec_lo
	s_mov_b32 s6, exec_lo
	s_wait_alu 0xfffe
	v_mbcnt_lo_u32_b32 v2, s7, 0
	global_load_b64 v[0:1], v3, s[2:3] offset:16
	v_cmpx_eq_u32_e32 0, v2
	s_cbranch_execz .LBB6_2779
; %bb.2778:
	s_bcnt1_i32_b32 s7, s7
	s_wait_alu 0xfffe
	v_mov_b32_e32 v2, s7
	global_wb scope:SCOPE_SYS
	s_wait_loadcnt 0x0
	s_wait_storecnt 0x0
	global_atomic_add_u64 v[0:1], v[2:3], off offset:8 scope:SCOPE_SYS
.LBB6_2779:
	s_or_b32 exec_lo, exec_lo, s6
	s_wait_loadcnt 0x0
	global_load_b64 v[2:3], v[0:1], off offset:16
	s_wait_loadcnt 0x0
	v_cmp_eq_u64_e32 vcc_lo, 0, v[2:3]
	s_cbranch_vccnz .LBB6_2781
; %bb.2780:
	global_load_b32 v0, v[0:1], off offset:24
	v_mov_b32_e32 v1, 0
	s_wait_loadcnt 0x0
	v_readfirstlane_b32 s6, v0
	global_wb scope:SCOPE_SYS
	s_wait_storecnt 0x0
	global_store_b64 v[2:3], v[0:1], off scope:SCOPE_SYS
	s_and_b32 m0, s6, 0xffffff
	s_sendmsg sendmsg(MSG_INTERRUPT)
.LBB6_2781:
	s_wait_alu 0xfffe
	s_or_b32 exec_lo, exec_lo, s1
	s_branch .LBB6_2785
.LBB6_2782:                             ;   in Loop: Header=BB6_2785 Depth=1
	s_wait_alu 0xfffe
	s_or_b32 exec_lo, exec_lo, s1
	s_delay_alu instid0(VALU_DEP_1)
	v_readfirstlane_b32 s1, v0
	s_cmp_eq_u32 s1, 0
	s_cbranch_scc1 .LBB6_2784
; %bb.2783:                             ;   in Loop: Header=BB6_2785 Depth=1
	s_sleep 1
	s_cbranch_execnz .LBB6_2785
	s_branch .LBB6_2787
.LBB6_2784:
	s_branch .LBB6_2787
.LBB6_2785:                             ; =>This Inner Loop Header: Depth=1
	v_mov_b32_e32 v0, 1
	s_and_saveexec_b32 s1, s0
	s_cbranch_execz .LBB6_2782
; %bb.2786:                             ;   in Loop: Header=BB6_2785 Depth=1
	global_load_b32 v0, v[8:9], off offset:20 scope:SCOPE_SYS
	s_wait_loadcnt 0x0
	global_inv scope:SCOPE_SYS
	v_and_b32_e32 v0, 1, v0
	s_branch .LBB6_2782
.LBB6_2787:
	global_load_b64 v[0:1], v[10:11], off
	s_and_saveexec_b32 s6, s0
	s_cbranch_execz .LBB6_2791
; %bb.2788:
	v_mov_b32_e32 v8, 0
	s_clause 0x2
	global_load_b64 v[2:3], v8, s[2:3] offset:40
	global_load_b64 v[11:12], v8, s[2:3] offset:24 scope:SCOPE_SYS
	global_load_b64 v[4:5], v8, s[2:3]
	s_wait_loadcnt 0x2
	v_readfirstlane_b32 s8, v2
	v_readfirstlane_b32 s9, v3
	s_add_nc_u64 s[0:1], s[8:9], 1
	s_wait_alu 0xfffe
	s_add_nc_u64 s[4:5], s[0:1], s[4:5]
	s_wait_alu 0xfffe
	s_cmp_eq_u64 s[4:5], 0
	s_cselect_b32 s1, s1, s5
	s_cselect_b32 s0, s0, s4
	s_wait_alu 0xfffe
	v_mov_b32_e32 v10, s1
	s_and_b64 s[4:5], s[0:1], s[8:9]
	v_mov_b32_e32 v9, s0
	s_wait_alu 0xfffe
	s_mul_u64 s[4:5], s[4:5], 24
	s_wait_loadcnt 0x0
	s_wait_alu 0xfffe
	v_add_co_u32 v6, vcc_lo, v4, s4
	s_wait_alu 0xfffd
	v_add_co_ci_u32_e64 v7, null, s5, v5, vcc_lo
	global_store_b64 v[6:7], v[11:12], off
	global_wb scope:SCOPE_SYS
	s_wait_storecnt 0x0
	global_atomic_cmpswap_b64 v[4:5], v8, v[9:12], s[2:3] offset:24 th:TH_ATOMIC_RETURN scope:SCOPE_SYS
	s_wait_loadcnt 0x0
	v_cmp_ne_u64_e32 vcc_lo, v[4:5], v[11:12]
	s_and_b32 exec_lo, exec_lo, vcc_lo
	s_cbranch_execz .LBB6_2791
; %bb.2789:
	s_mov_b32 s4, 0
.LBB6_2790:                             ; =>This Inner Loop Header: Depth=1
	v_dual_mov_b32 v2, s0 :: v_dual_mov_b32 v3, s1
	s_sleep 1
	global_store_b64 v[6:7], v[4:5], off
	global_wb scope:SCOPE_SYS
	s_wait_storecnt 0x0
	global_atomic_cmpswap_b64 v[2:3], v8, v[2:5], s[2:3] offset:24 th:TH_ATOMIC_RETURN scope:SCOPE_SYS
	s_wait_loadcnt 0x0
	v_cmp_eq_u64_e32 vcc_lo, v[2:3], v[4:5]
	v_dual_mov_b32 v5, v3 :: v_dual_mov_b32 v4, v2
	s_wait_alu 0xfffe
	s_or_b32 s4, vcc_lo, s4
	s_wait_alu 0xfffe
	s_and_not1_b32 exec_lo, exec_lo, s4
	s_cbranch_execnz .LBB6_2790
.LBB6_2791:
	s_wait_alu 0xfffe
	s_or_b32 exec_lo, exec_lo, s6
	s_getpc_b64 s[4:5]
	s_wait_alu 0xfffe
	s_sext_i32_i16 s5, s5
	s_add_co_u32 s4, s4, .str.28@rel32@lo+12
	s_wait_alu 0xfffe
	s_add_co_ci_u32 s5, s5, .str.28@rel32@hi+24
	s_wait_alu 0xfffe
	s_cmp_lg_u64 s[4:5], 0
	s_cbranch_scc0 .LBB6_2870
; %bb.2792:
	s_wait_loadcnt 0x0
	v_dual_mov_b32 v7, v1 :: v_dual_and_b32 v6, -3, v0
	v_dual_mov_b32 v3, 0 :: v_dual_mov_b32 v4, 2
	v_mov_b32_e32 v5, 1
	s_mov_b64 s[6:7], 35
	s_branch .LBB6_2794
.LBB6_2793:                             ;   in Loop: Header=BB6_2794 Depth=1
	s_wait_alu 0xfffe
	s_or_b32 exec_lo, exec_lo, s12
	s_sub_nc_u64 s[6:7], s[6:7], s[8:9]
	s_add_nc_u64 s[4:5], s[4:5], s[8:9]
	s_wait_alu 0xfffe
	s_cmp_lg_u64 s[6:7], 0
	s_cbranch_scc0 .LBB6_2869
.LBB6_2794:                             ; =>This Loop Header: Depth=1
                                        ;     Child Loop BB6_2797 Depth 2
                                        ;     Child Loop BB6_2804 Depth 2
	;; [unrolled: 1-line block ×11, first 2 shown]
	s_wait_alu 0xfffe
	v_cmp_lt_u64_e64 s0, s[6:7], 56
	v_cmp_gt_u64_e64 s1, s[6:7], 7
	s_and_b32 s0, s0, exec_lo
	s_cselect_b32 s9, s7, 0
	s_cselect_b32 s8, s6, 56
	s_and_b32 vcc_lo, exec_lo, s1
	s_wait_alu 0xfffe
	s_cbranch_vccnz .LBB6_2799
; %bb.2795:                             ;   in Loop: Header=BB6_2794 Depth=1
	s_wait_loadcnt 0x0
	v_mov_b32_e32 v8, 0
	v_mov_b32_e32 v9, 0
	s_cmp_eq_u64 s[6:7], 0
	s_cbranch_scc1 .LBB6_2798
; %bb.2796:                             ;   in Loop: Header=BB6_2794 Depth=1
	s_mov_b64 s[0:1], 0
	s_mov_b64 s[10:11], 0
.LBB6_2797:                             ;   Parent Loop BB6_2794 Depth=1
                                        ; =>  This Inner Loop Header: Depth=2
	s_wait_alu 0xfffe
	s_add_nc_u64 s[12:13], s[4:5], s[10:11]
	s_add_nc_u64 s[10:11], s[10:11], 1
	global_load_u8 v2, v3, s[12:13]
	s_wait_alu 0xfffe
	s_cmp_lg_u32 s8, s10
	s_wait_loadcnt 0x0
	v_and_b32_e32 v2, 0xffff, v2
	s_delay_alu instid0(VALU_DEP_1) | instskip(SKIP_1) | instid1(VALU_DEP_1)
	v_lshlrev_b64_e32 v[10:11], s0, v[2:3]
	s_add_nc_u64 s[0:1], s[0:1], 8
	v_or_b32_e32 v8, v10, v8
	s_delay_alu instid0(VALU_DEP_2)
	v_or_b32_e32 v9, v11, v9
	s_cbranch_scc1 .LBB6_2797
.LBB6_2798:                             ;   in Loop: Header=BB6_2794 Depth=1
	s_mov_b64 s[10:11], s[4:5]
	s_mov_b32 s14, 0
	s_cbranch_execz .LBB6_2800
	s_branch .LBB6_2801
.LBB6_2799:                             ;   in Loop: Header=BB6_2794 Depth=1
	s_add_nc_u64 s[10:11], s[4:5], 8
	s_mov_b32 s14, 0
.LBB6_2800:                             ;   in Loop: Header=BB6_2794 Depth=1
	s_wait_loadcnt 0x0
	global_load_b64 v[8:9], v3, s[4:5]
	s_add_co_i32 s14, s8, -8
.LBB6_2801:                             ;   in Loop: Header=BB6_2794 Depth=1
	s_wait_alu 0xfffe
	s_cmp_gt_u32 s14, 7
	s_cbranch_scc1 .LBB6_2806
; %bb.2802:                             ;   in Loop: Header=BB6_2794 Depth=1
	v_mov_b32_e32 v10, 0
	v_mov_b32_e32 v11, 0
	s_cmp_eq_u32 s14, 0
	s_cbranch_scc1 .LBB6_2805
; %bb.2803:                             ;   in Loop: Header=BB6_2794 Depth=1
	s_mov_b64 s[0:1], 0
	s_mov_b64 s[12:13], 0
.LBB6_2804:                             ;   Parent Loop BB6_2794 Depth=1
                                        ; =>  This Inner Loop Header: Depth=2
	s_wait_alu 0xfffe
	s_add_nc_u64 s[18:19], s[10:11], s[12:13]
	s_add_nc_u64 s[12:13], s[12:13], 1
	global_load_u8 v2, v3, s[18:19]
	s_wait_alu 0xfffe
	s_cmp_lg_u32 s14, s12
	s_wait_loadcnt 0x0
	v_and_b32_e32 v2, 0xffff, v2
	s_delay_alu instid0(VALU_DEP_1) | instskip(SKIP_1) | instid1(VALU_DEP_1)
	v_lshlrev_b64_e32 v[12:13], s0, v[2:3]
	s_add_nc_u64 s[0:1], s[0:1], 8
	v_or_b32_e32 v10, v12, v10
	s_delay_alu instid0(VALU_DEP_2)
	v_or_b32_e32 v11, v13, v11
	s_cbranch_scc1 .LBB6_2804
.LBB6_2805:                             ;   in Loop: Header=BB6_2794 Depth=1
	s_mov_b64 s[0:1], s[10:11]
	s_mov_b32 s15, 0
	s_cbranch_execz .LBB6_2807
	s_branch .LBB6_2808
.LBB6_2806:                             ;   in Loop: Header=BB6_2794 Depth=1
	s_add_nc_u64 s[0:1], s[10:11], 8
                                        ; implicit-def: $vgpr10_vgpr11
	s_mov_b32 s15, 0
.LBB6_2807:                             ;   in Loop: Header=BB6_2794 Depth=1
	global_load_b64 v[10:11], v3, s[10:11]
	s_add_co_i32 s15, s14, -8
.LBB6_2808:                             ;   in Loop: Header=BB6_2794 Depth=1
	s_wait_alu 0xfffe
	s_cmp_gt_u32 s15, 7
	s_cbranch_scc1 .LBB6_2813
; %bb.2809:                             ;   in Loop: Header=BB6_2794 Depth=1
	v_mov_b32_e32 v12, 0
	v_mov_b32_e32 v13, 0
	s_cmp_eq_u32 s15, 0
	s_cbranch_scc1 .LBB6_2812
; %bb.2810:                             ;   in Loop: Header=BB6_2794 Depth=1
	s_mov_b64 s[10:11], 0
	s_mov_b64 s[12:13], 0
.LBB6_2811:                             ;   Parent Loop BB6_2794 Depth=1
                                        ; =>  This Inner Loop Header: Depth=2
	s_wait_alu 0xfffe
	s_add_nc_u64 s[18:19], s[0:1], s[12:13]
	s_add_nc_u64 s[12:13], s[12:13], 1
	global_load_u8 v2, v3, s[18:19]
	s_wait_alu 0xfffe
	s_cmp_lg_u32 s15, s12
	s_wait_loadcnt 0x0
	v_and_b32_e32 v2, 0xffff, v2
	s_delay_alu instid0(VALU_DEP_1) | instskip(SKIP_1) | instid1(VALU_DEP_1)
	v_lshlrev_b64_e32 v[14:15], s10, v[2:3]
	s_add_nc_u64 s[10:11], s[10:11], 8
	v_or_b32_e32 v12, v14, v12
	s_delay_alu instid0(VALU_DEP_2)
	v_or_b32_e32 v13, v15, v13
	s_cbranch_scc1 .LBB6_2811
.LBB6_2812:                             ;   in Loop: Header=BB6_2794 Depth=1
	s_mov_b64 s[10:11], s[0:1]
	s_mov_b32 s14, 0
	s_cbranch_execz .LBB6_2814
	s_branch .LBB6_2815
.LBB6_2813:                             ;   in Loop: Header=BB6_2794 Depth=1
	s_add_nc_u64 s[10:11], s[0:1], 8
	s_mov_b32 s14, 0
.LBB6_2814:                             ;   in Loop: Header=BB6_2794 Depth=1
	global_load_b64 v[12:13], v3, s[0:1]
	s_add_co_i32 s14, s15, -8
.LBB6_2815:                             ;   in Loop: Header=BB6_2794 Depth=1
	s_wait_alu 0xfffe
	s_cmp_gt_u32 s14, 7
	s_cbranch_scc1 .LBB6_2820
; %bb.2816:                             ;   in Loop: Header=BB6_2794 Depth=1
	v_mov_b32_e32 v14, 0
	v_mov_b32_e32 v15, 0
	s_cmp_eq_u32 s14, 0
	s_cbranch_scc1 .LBB6_2819
; %bb.2817:                             ;   in Loop: Header=BB6_2794 Depth=1
	s_mov_b64 s[0:1], 0
	s_mov_b64 s[12:13], 0
.LBB6_2818:                             ;   Parent Loop BB6_2794 Depth=1
                                        ; =>  This Inner Loop Header: Depth=2
	s_wait_alu 0xfffe
	s_add_nc_u64 s[18:19], s[10:11], s[12:13]
	s_add_nc_u64 s[12:13], s[12:13], 1
	global_load_u8 v2, v3, s[18:19]
	s_wait_alu 0xfffe
	s_cmp_lg_u32 s14, s12
	s_wait_loadcnt 0x0
	v_and_b32_e32 v2, 0xffff, v2
	s_delay_alu instid0(VALU_DEP_1) | instskip(SKIP_1) | instid1(VALU_DEP_1)
	v_lshlrev_b64_e32 v[16:17], s0, v[2:3]
	s_add_nc_u64 s[0:1], s[0:1], 8
	v_or_b32_e32 v14, v16, v14
	s_delay_alu instid0(VALU_DEP_2)
	v_or_b32_e32 v15, v17, v15
	s_cbranch_scc1 .LBB6_2818
.LBB6_2819:                             ;   in Loop: Header=BB6_2794 Depth=1
	s_mov_b64 s[0:1], s[10:11]
	s_mov_b32 s15, 0
	s_cbranch_execz .LBB6_2821
	s_branch .LBB6_2822
.LBB6_2820:                             ;   in Loop: Header=BB6_2794 Depth=1
	s_add_nc_u64 s[0:1], s[10:11], 8
                                        ; implicit-def: $vgpr14_vgpr15
	s_mov_b32 s15, 0
.LBB6_2821:                             ;   in Loop: Header=BB6_2794 Depth=1
	global_load_b64 v[14:15], v3, s[10:11]
	s_add_co_i32 s15, s14, -8
.LBB6_2822:                             ;   in Loop: Header=BB6_2794 Depth=1
	s_wait_alu 0xfffe
	s_cmp_gt_u32 s15, 7
	s_cbranch_scc1 .LBB6_2827
; %bb.2823:                             ;   in Loop: Header=BB6_2794 Depth=1
	v_mov_b32_e32 v16, 0
	v_mov_b32_e32 v17, 0
	s_cmp_eq_u32 s15, 0
	s_cbranch_scc1 .LBB6_2826
; %bb.2824:                             ;   in Loop: Header=BB6_2794 Depth=1
	s_mov_b64 s[10:11], 0
	s_mov_b64 s[12:13], 0
.LBB6_2825:                             ;   Parent Loop BB6_2794 Depth=1
                                        ; =>  This Inner Loop Header: Depth=2
	s_wait_alu 0xfffe
	s_add_nc_u64 s[18:19], s[0:1], s[12:13]
	s_add_nc_u64 s[12:13], s[12:13], 1
	global_load_u8 v2, v3, s[18:19]
	s_wait_alu 0xfffe
	s_cmp_lg_u32 s15, s12
	s_wait_loadcnt 0x0
	v_and_b32_e32 v2, 0xffff, v2
	s_delay_alu instid0(VALU_DEP_1) | instskip(SKIP_1) | instid1(VALU_DEP_1)
	v_lshlrev_b64_e32 v[18:19], s10, v[2:3]
	s_add_nc_u64 s[10:11], s[10:11], 8
	v_or_b32_e32 v16, v18, v16
	s_delay_alu instid0(VALU_DEP_2)
	v_or_b32_e32 v17, v19, v17
	s_cbranch_scc1 .LBB6_2825
.LBB6_2826:                             ;   in Loop: Header=BB6_2794 Depth=1
	s_mov_b64 s[10:11], s[0:1]
	s_mov_b32 s14, 0
	s_cbranch_execz .LBB6_2828
	s_branch .LBB6_2829
.LBB6_2827:                             ;   in Loop: Header=BB6_2794 Depth=1
	s_add_nc_u64 s[10:11], s[0:1], 8
	s_mov_b32 s14, 0
.LBB6_2828:                             ;   in Loop: Header=BB6_2794 Depth=1
	global_load_b64 v[16:17], v3, s[0:1]
	s_add_co_i32 s14, s15, -8
.LBB6_2829:                             ;   in Loop: Header=BB6_2794 Depth=1
	s_wait_alu 0xfffe
	s_cmp_gt_u32 s14, 7
	s_cbranch_scc1 .LBB6_2834
; %bb.2830:                             ;   in Loop: Header=BB6_2794 Depth=1
	v_mov_b32_e32 v18, 0
	v_mov_b32_e32 v19, 0
	s_cmp_eq_u32 s14, 0
	s_cbranch_scc1 .LBB6_2833
; %bb.2831:                             ;   in Loop: Header=BB6_2794 Depth=1
	s_mov_b64 s[0:1], 0
	s_mov_b64 s[12:13], 0
.LBB6_2832:                             ;   Parent Loop BB6_2794 Depth=1
                                        ; =>  This Inner Loop Header: Depth=2
	s_wait_alu 0xfffe
	s_add_nc_u64 s[18:19], s[10:11], s[12:13]
	s_add_nc_u64 s[12:13], s[12:13], 1
	global_load_u8 v2, v3, s[18:19]
	s_wait_alu 0xfffe
	s_cmp_lg_u32 s14, s12
	s_wait_loadcnt 0x0
	v_and_b32_e32 v2, 0xffff, v2
	s_delay_alu instid0(VALU_DEP_1) | instskip(SKIP_1) | instid1(VALU_DEP_1)
	v_lshlrev_b64_e32 v[20:21], s0, v[2:3]
	s_add_nc_u64 s[0:1], s[0:1], 8
	v_or_b32_e32 v18, v20, v18
	s_delay_alu instid0(VALU_DEP_2)
	v_or_b32_e32 v19, v21, v19
	s_cbranch_scc1 .LBB6_2832
.LBB6_2833:                             ;   in Loop: Header=BB6_2794 Depth=1
	s_mov_b64 s[0:1], s[10:11]
	s_mov_b32 s15, 0
	s_cbranch_execz .LBB6_2835
	s_branch .LBB6_2836
.LBB6_2834:                             ;   in Loop: Header=BB6_2794 Depth=1
	s_add_nc_u64 s[0:1], s[10:11], 8
                                        ; implicit-def: $vgpr18_vgpr19
	s_mov_b32 s15, 0
.LBB6_2835:                             ;   in Loop: Header=BB6_2794 Depth=1
	global_load_b64 v[18:19], v3, s[10:11]
	s_add_co_i32 s15, s14, -8
.LBB6_2836:                             ;   in Loop: Header=BB6_2794 Depth=1
	s_wait_alu 0xfffe
	s_cmp_gt_u32 s15, 7
	s_cbranch_scc1 .LBB6_2841
; %bb.2837:                             ;   in Loop: Header=BB6_2794 Depth=1
	v_mov_b32_e32 v20, 0
	v_mov_b32_e32 v21, 0
	s_cmp_eq_u32 s15, 0
	s_cbranch_scc1 .LBB6_2840
; %bb.2838:                             ;   in Loop: Header=BB6_2794 Depth=1
	s_mov_b64 s[10:11], 0
	s_mov_b64 s[12:13], s[0:1]
.LBB6_2839:                             ;   Parent Loop BB6_2794 Depth=1
                                        ; =>  This Inner Loop Header: Depth=2
	global_load_u8 v2, v3, s[12:13]
	s_add_co_i32 s15, s15, -1
	s_wait_alu 0xfffe
	s_add_nc_u64 s[12:13], s[12:13], 1
	s_cmp_lg_u32 s15, 0
	s_wait_loadcnt 0x0
	v_and_b32_e32 v2, 0xffff, v2
	s_delay_alu instid0(VALU_DEP_1) | instskip(SKIP_1) | instid1(VALU_DEP_1)
	v_lshlrev_b64_e32 v[22:23], s10, v[2:3]
	s_add_nc_u64 s[10:11], s[10:11], 8
	v_or_b32_e32 v20, v22, v20
	s_delay_alu instid0(VALU_DEP_2)
	v_or_b32_e32 v21, v23, v21
	s_cbranch_scc1 .LBB6_2839
.LBB6_2840:                             ;   in Loop: Header=BB6_2794 Depth=1
	s_cbranch_execz .LBB6_2842
	s_branch .LBB6_2843
.LBB6_2841:                             ;   in Loop: Header=BB6_2794 Depth=1
.LBB6_2842:                             ;   in Loop: Header=BB6_2794 Depth=1
	global_load_b64 v[20:21], v3, s[0:1]
.LBB6_2843:                             ;   in Loop: Header=BB6_2794 Depth=1
	v_readfirstlane_b32 s0, v31
	v_mov_b32_e32 v26, 0
	v_mov_b32_e32 v27, 0
	s_wait_alu 0xf1ff
	s_delay_alu instid0(VALU_DEP_3)
	v_cmp_eq_u32_e64 s0, s0, v31
	s_and_saveexec_b32 s1, s0
	s_cbranch_execz .LBB6_2849
; %bb.2844:                             ;   in Loop: Header=BB6_2794 Depth=1
	global_load_b64 v[24:25], v3, s[2:3] offset:24 scope:SCOPE_SYS
	s_wait_loadcnt 0x0
	global_inv scope:SCOPE_SYS
	s_clause 0x1
	global_load_b64 v[22:23], v3, s[2:3] offset:40
	global_load_b64 v[26:27], v3, s[2:3]
	s_mov_b32 s10, exec_lo
	s_wait_loadcnt 0x1
	v_and_b32_e32 v2, v23, v25
	v_and_b32_e32 v22, v22, v24
	s_delay_alu instid0(VALU_DEP_2) | instskip(NEXT) | instid1(VALU_DEP_2)
	v_mul_lo_u32 v2, 24, v2
	v_mul_lo_u32 v23, 0, v22
	v_mul_hi_u32 v28, 24, v22
	v_mul_lo_u32 v22, 24, v22
	s_delay_alu instid0(VALU_DEP_3) | instskip(SKIP_1) | instid1(VALU_DEP_2)
	v_add_nc_u32_e32 v2, v2, v23
	s_wait_loadcnt 0x0
	v_add_co_u32 v22, vcc_lo, v26, v22
	s_delay_alu instid0(VALU_DEP_2) | instskip(SKIP_1) | instid1(VALU_DEP_1)
	v_add_nc_u32_e32 v2, v2, v28
	s_wait_alu 0xfffd
	v_add_co_ci_u32_e64 v23, null, v27, v2, vcc_lo
	global_load_b64 v[22:23], v[22:23], off scope:SCOPE_SYS
	s_wait_loadcnt 0x0
	global_atomic_cmpswap_b64 v[26:27], v3, v[22:25], s[2:3] offset:24 th:TH_ATOMIC_RETURN scope:SCOPE_SYS
	s_wait_loadcnt 0x0
	global_inv scope:SCOPE_SYS
	v_cmpx_ne_u64_e64 v[26:27], v[24:25]
	s_cbranch_execz .LBB6_2848
; %bb.2845:                             ;   in Loop: Header=BB6_2794 Depth=1
	s_mov_b32 s11, 0
.LBB6_2846:                             ;   Parent Loop BB6_2794 Depth=1
                                        ; =>  This Inner Loop Header: Depth=2
	s_sleep 1
	s_clause 0x1
	global_load_b64 v[22:23], v3, s[2:3] offset:40
	global_load_b64 v[28:29], v3, s[2:3]
	v_dual_mov_b32 v24, v26 :: v_dual_mov_b32 v25, v27
	s_wait_loadcnt 0x1
	s_delay_alu instid0(VALU_DEP_1) | instskip(NEXT) | instid1(VALU_DEP_2)
	v_and_b32_e32 v2, v22, v24
	v_and_b32_e32 v22, v23, v25
	s_wait_loadcnt 0x0
	s_delay_alu instid0(VALU_DEP_2) | instskip(NEXT) | instid1(VALU_DEP_1)
	v_mad_co_u64_u32 v[26:27], null, v2, 24, v[28:29]
	v_mov_b32_e32 v2, v27
	s_delay_alu instid0(VALU_DEP_1) | instskip(NEXT) | instid1(VALU_DEP_1)
	v_mad_co_u64_u32 v[22:23], null, v22, 24, v[2:3]
	v_mov_b32_e32 v27, v22
	global_load_b64 v[22:23], v[26:27], off scope:SCOPE_SYS
	s_wait_loadcnt 0x0
	global_atomic_cmpswap_b64 v[26:27], v3, v[22:25], s[2:3] offset:24 th:TH_ATOMIC_RETURN scope:SCOPE_SYS
	s_wait_loadcnt 0x0
	global_inv scope:SCOPE_SYS
	v_cmp_eq_u64_e32 vcc_lo, v[26:27], v[24:25]
	s_wait_alu 0xfffe
	s_or_b32 s11, vcc_lo, s11
	s_wait_alu 0xfffe
	s_and_not1_b32 exec_lo, exec_lo, s11
	s_cbranch_execnz .LBB6_2846
; %bb.2847:                             ;   in Loop: Header=BB6_2794 Depth=1
	s_or_b32 exec_lo, exec_lo, s11
.LBB6_2848:                             ;   in Loop: Header=BB6_2794 Depth=1
	s_wait_alu 0xfffe
	s_or_b32 exec_lo, exec_lo, s10
.LBB6_2849:                             ;   in Loop: Header=BB6_2794 Depth=1
	s_wait_alu 0xfffe
	s_or_b32 exec_lo, exec_lo, s1
	s_clause 0x1
	global_load_b64 v[28:29], v3, s[2:3] offset:40
	global_load_b128 v[22:25], v3, s[2:3]
	v_readfirstlane_b32 s11, v27
	v_readfirstlane_b32 s10, v26
	s_mov_b32 s1, exec_lo
	s_wait_loadcnt 0x1
	s_wait_alu 0xf1ff
	v_and_b32_e32 v29, s11, v29
	v_and_b32_e32 v28, s10, v28
	s_delay_alu instid0(VALU_DEP_2) | instskip(NEXT) | instid1(VALU_DEP_2)
	v_mul_lo_u32 v2, 24, v29
	v_mul_lo_u32 v26, 0, v28
	v_mul_hi_u32 v27, 24, v28
	v_mul_lo_u32 v32, 24, v28
	s_delay_alu instid0(VALU_DEP_3) | instskip(SKIP_1) | instid1(VALU_DEP_2)
	v_add_nc_u32_e32 v2, v2, v26
	s_wait_loadcnt 0x0
	v_add_co_u32 v26, vcc_lo, v22, v32
	s_delay_alu instid0(VALU_DEP_2) | instskip(SKIP_1) | instid1(VALU_DEP_1)
	v_add_nc_u32_e32 v2, v2, v27
	s_wait_alu 0xfffd
	v_add_co_ci_u32_e64 v27, null, v23, v2, vcc_lo
	s_and_saveexec_b32 s12, s0
	s_cbranch_execz .LBB6_2851
; %bb.2850:                             ;   in Loop: Header=BB6_2794 Depth=1
	s_wait_alu 0xfffe
	v_mov_b32_e32 v2, s1
	global_store_b128 v[26:27], v[2:5], off offset:8
.LBB6_2851:                             ;   in Loop: Header=BB6_2794 Depth=1
	s_wait_alu 0xfffe
	s_or_b32 exec_lo, exec_lo, s12
	v_cmp_gt_u64_e64 s1, s[6:7], 56
	v_lshlrev_b64_e32 v[28:29], 12, v[28:29]
	v_and_b32_e32 v2, 0xffffff1f, v6
	s_and_b32 s1, s1, exec_lo
	s_delay_alu instid0(VALU_DEP_2)
	v_add_co_u32 v24, vcc_lo, v24, v28
	s_cselect_b32 s1, 0, 2
	s_wait_alu 0xfffd
	v_add_co_ci_u32_e64 v25, null, v25, v29, vcc_lo
	s_wait_alu 0xfffe
	v_or_b32_e32 v2, s1, v2
	s_lshl_b32 s12, s8, 2
	s_wait_alu 0xfffe
	s_add_co_i32 s1, s12, 28
	v_readfirstlane_b32 s12, v24
	v_readfirstlane_b32 s13, v25
	s_wait_alu 0xfffe
	v_and_or_b32 v6, 0x1e0, s1, v2
	s_clause 0x3
	global_store_b128 v30, v[6:9], s[12:13]
	global_store_b128 v30, v[10:13], s[12:13] offset:16
	global_store_b128 v30, v[14:17], s[12:13] offset:32
	;; [unrolled: 1-line block ×3, first 2 shown]
	s_and_saveexec_b32 s1, s0
	s_cbranch_execz .LBB6_2859
; %bb.2852:                             ;   in Loop: Header=BB6_2794 Depth=1
	s_clause 0x1
	global_load_b64 v[14:15], v3, s[2:3] offset:32 scope:SCOPE_SYS
	global_load_b64 v[6:7], v3, s[2:3] offset:40
	v_mov_b32_e32 v12, s10
	s_mov_b32 s12, exec_lo
	s_wait_loadcnt 0x0
	v_dual_mov_b32 v13, s11 :: v_dual_and_b32 v2, s11, v7
	v_and_b32_e32 v6, s10, v6
	s_delay_alu instid0(VALU_DEP_2) | instskip(NEXT) | instid1(VALU_DEP_2)
	v_mul_lo_u32 v2, 24, v2
	v_mul_lo_u32 v7, 0, v6
	v_mul_hi_u32 v8, 24, v6
	v_mul_lo_u32 v6, 24, v6
	s_delay_alu instid0(VALU_DEP_3) | instskip(NEXT) | instid1(VALU_DEP_2)
	v_add_nc_u32_e32 v2, v2, v7
	v_add_co_u32 v10, vcc_lo, v22, v6
	s_delay_alu instid0(VALU_DEP_2) | instskip(SKIP_1) | instid1(VALU_DEP_1)
	v_add_nc_u32_e32 v2, v2, v8
	s_wait_alu 0xfffd
	v_add_co_ci_u32_e64 v11, null, v23, v2, vcc_lo
	global_store_b64 v[10:11], v[14:15], off
	global_wb scope:SCOPE_SYS
	s_wait_storecnt 0x0
	global_atomic_cmpswap_b64 v[8:9], v3, v[12:15], s[2:3] offset:32 th:TH_ATOMIC_RETURN scope:SCOPE_SYS
	s_wait_loadcnt 0x0
	v_cmpx_ne_u64_e64 v[8:9], v[14:15]
	s_cbranch_execz .LBB6_2855
; %bb.2853:                             ;   in Loop: Header=BB6_2794 Depth=1
	s_mov_b32 s13, 0
.LBB6_2854:                             ;   Parent Loop BB6_2794 Depth=1
                                        ; =>  This Inner Loop Header: Depth=2
	v_dual_mov_b32 v6, s10 :: v_dual_mov_b32 v7, s11
	s_sleep 1
	global_store_b64 v[10:11], v[8:9], off
	global_wb scope:SCOPE_SYS
	s_wait_storecnt 0x0
	global_atomic_cmpswap_b64 v[6:7], v3, v[6:9], s[2:3] offset:32 th:TH_ATOMIC_RETURN scope:SCOPE_SYS
	s_wait_loadcnt 0x0
	v_cmp_eq_u64_e32 vcc_lo, v[6:7], v[8:9]
	v_dual_mov_b32 v9, v7 :: v_dual_mov_b32 v8, v6
	s_wait_alu 0xfffe
	s_or_b32 s13, vcc_lo, s13
	s_wait_alu 0xfffe
	s_and_not1_b32 exec_lo, exec_lo, s13
	s_cbranch_execnz .LBB6_2854
.LBB6_2855:                             ;   in Loop: Header=BB6_2794 Depth=1
	s_wait_alu 0xfffe
	s_or_b32 exec_lo, exec_lo, s12
	global_load_b64 v[6:7], v3, s[2:3] offset:16
	s_mov_b32 s13, exec_lo
	s_mov_b32 s12, exec_lo
	s_wait_alu 0xfffe
	v_mbcnt_lo_u32_b32 v2, s13, 0
	s_delay_alu instid0(VALU_DEP_1)
	v_cmpx_eq_u32_e32 0, v2
	s_cbranch_execz .LBB6_2857
; %bb.2856:                             ;   in Loop: Header=BB6_2794 Depth=1
	s_bcnt1_i32_b32 s13, s13
	s_wait_alu 0xfffe
	v_mov_b32_e32 v2, s13
	global_wb scope:SCOPE_SYS
	s_wait_loadcnt 0x0
	s_wait_storecnt 0x0
	global_atomic_add_u64 v[6:7], v[2:3], off offset:8 scope:SCOPE_SYS
.LBB6_2857:                             ;   in Loop: Header=BB6_2794 Depth=1
	s_or_b32 exec_lo, exec_lo, s12
	s_wait_loadcnt 0x0
	global_load_b64 v[8:9], v[6:7], off offset:16
	s_wait_loadcnt 0x0
	v_cmp_eq_u64_e32 vcc_lo, 0, v[8:9]
	s_cbranch_vccnz .LBB6_2859
; %bb.2858:                             ;   in Loop: Header=BB6_2794 Depth=1
	global_load_b32 v2, v[6:7], off offset:24
	s_wait_loadcnt 0x0
	v_readfirstlane_b32 s12, v2
	global_wb scope:SCOPE_SYS
	s_wait_storecnt 0x0
	global_store_b64 v[8:9], v[2:3], off scope:SCOPE_SYS
	s_and_b32 m0, s12, 0xffffff
	s_sendmsg sendmsg(MSG_INTERRUPT)
.LBB6_2859:                             ;   in Loop: Header=BB6_2794 Depth=1
	s_wait_alu 0xfffe
	s_or_b32 exec_lo, exec_lo, s1
	v_add_co_u32 v6, vcc_lo, v24, v30
	s_wait_alu 0xfffd
	v_add_co_ci_u32_e64 v7, null, 0, v25, vcc_lo
	s_branch .LBB6_2863
.LBB6_2860:                             ;   in Loop: Header=BB6_2863 Depth=2
	s_wait_alu 0xfffe
	s_or_b32 exec_lo, exec_lo, s1
	s_delay_alu instid0(VALU_DEP_1)
	v_readfirstlane_b32 s1, v2
	s_cmp_eq_u32 s1, 0
	s_cbranch_scc1 .LBB6_2862
; %bb.2861:                             ;   in Loop: Header=BB6_2863 Depth=2
	s_sleep 1
	s_cbranch_execnz .LBB6_2863
	s_branch .LBB6_2865
.LBB6_2862:                             ;   in Loop: Header=BB6_2794 Depth=1
	s_branch .LBB6_2865
.LBB6_2863:                             ;   Parent Loop BB6_2794 Depth=1
                                        ; =>  This Inner Loop Header: Depth=2
	v_mov_b32_e32 v2, 1
	s_and_saveexec_b32 s1, s0
	s_cbranch_execz .LBB6_2860
; %bb.2864:                             ;   in Loop: Header=BB6_2863 Depth=2
	global_load_b32 v2, v[26:27], off offset:20 scope:SCOPE_SYS
	s_wait_loadcnt 0x0
	global_inv scope:SCOPE_SYS
	v_and_b32_e32 v2, 1, v2
	s_branch .LBB6_2860
.LBB6_2865:                             ;   in Loop: Header=BB6_2794 Depth=1
	global_load_b128 v[6:9], v[6:7], off
	s_and_saveexec_b32 s12, s0
	s_cbranch_execz .LBB6_2793
; %bb.2866:                             ;   in Loop: Header=BB6_2794 Depth=1
	s_wait_loadcnt 0x0
	s_clause 0x2
	global_load_b64 v[8:9], v3, s[2:3] offset:40
	global_load_b64 v[16:17], v3, s[2:3] offset:24 scope:SCOPE_SYS
	global_load_b64 v[10:11], v3, s[2:3]
	s_wait_loadcnt 0x2
	v_readfirstlane_b32 s14, v8
	v_readfirstlane_b32 s15, v9
	s_add_nc_u64 s[0:1], s[14:15], 1
	s_wait_alu 0xfffe
	s_add_nc_u64 s[10:11], s[0:1], s[10:11]
	s_wait_alu 0xfffe
	s_cmp_eq_u64 s[10:11], 0
	s_cselect_b32 s1, s1, s11
	s_cselect_b32 s0, s0, s10
	s_wait_alu 0xfffe
	v_dual_mov_b32 v15, s1 :: v_dual_mov_b32 v14, s0
	s_and_b64 s[10:11], s[0:1], s[14:15]
	s_wait_alu 0xfffe
	s_mul_u64 s[10:11], s[10:11], 24
	s_wait_loadcnt 0x0
	s_wait_alu 0xfffe
	v_add_co_u32 v12, vcc_lo, v10, s10
	s_wait_alu 0xfffd
	v_add_co_ci_u32_e64 v13, null, s11, v11, vcc_lo
	global_store_b64 v[12:13], v[16:17], off
	global_wb scope:SCOPE_SYS
	s_wait_storecnt 0x0
	global_atomic_cmpswap_b64 v[10:11], v3, v[14:17], s[2:3] offset:24 th:TH_ATOMIC_RETURN scope:SCOPE_SYS
	s_wait_loadcnt 0x0
	v_cmp_ne_u64_e32 vcc_lo, v[10:11], v[16:17]
	s_and_b32 exec_lo, exec_lo, vcc_lo
	s_cbranch_execz .LBB6_2793
; %bb.2867:                             ;   in Loop: Header=BB6_2794 Depth=1
	s_mov_b32 s10, 0
.LBB6_2868:                             ;   Parent Loop BB6_2794 Depth=1
                                        ; =>  This Inner Loop Header: Depth=2
	v_dual_mov_b32 v8, s0 :: v_dual_mov_b32 v9, s1
	s_sleep 1
	global_store_b64 v[12:13], v[10:11], off
	global_wb scope:SCOPE_SYS
	s_wait_storecnt 0x0
	global_atomic_cmpswap_b64 v[8:9], v3, v[8:11], s[2:3] offset:24 th:TH_ATOMIC_RETURN scope:SCOPE_SYS
	s_wait_loadcnt 0x0
	v_cmp_eq_u64_e32 vcc_lo, v[8:9], v[10:11]
	v_dual_mov_b32 v11, v9 :: v_dual_mov_b32 v10, v8
	s_wait_alu 0xfffe
	s_or_b32 s10, vcc_lo, s10
	s_wait_alu 0xfffe
	s_and_not1_b32 exec_lo, exec_lo, s10
	s_cbranch_execnz .LBB6_2868
	s_branch .LBB6_2793
.LBB6_2869:
	s_branch .LBB6_2898
.LBB6_2870:
	s_cbranch_execz .LBB6_2898
; %bb.2871:
	v_readfirstlane_b32 s0, v31
	s_wait_loadcnt 0x0
	v_mov_b32_e32 v8, 0
	v_mov_b32_e32 v9, 0
	s_wait_alu 0xf1ff
	v_cmp_eq_u32_e64 s0, s0, v31
	s_and_saveexec_b32 s1, s0
	s_cbranch_execz .LBB6_2877
; %bb.2872:
	v_mov_b32_e32 v2, 0
	s_mov_b32 s4, exec_lo
	global_load_b64 v[5:6], v2, s[2:3] offset:24 scope:SCOPE_SYS
	s_wait_loadcnt 0x0
	global_inv scope:SCOPE_SYS
	s_clause 0x1
	global_load_b64 v[3:4], v2, s[2:3] offset:40
	global_load_b64 v[7:8], v2, s[2:3]
	s_wait_loadcnt 0x1
	v_and_b32_e32 v4, v4, v6
	v_and_b32_e32 v3, v3, v5
	s_delay_alu instid0(VALU_DEP_2) | instskip(NEXT) | instid1(VALU_DEP_2)
	v_mul_lo_u32 v4, 24, v4
	v_mul_lo_u32 v9, 0, v3
	v_mul_hi_u32 v10, 24, v3
	v_mul_lo_u32 v3, 24, v3
	s_delay_alu instid0(VALU_DEP_3) | instskip(SKIP_1) | instid1(VALU_DEP_2)
	v_add_nc_u32_e32 v4, v4, v9
	s_wait_loadcnt 0x0
	v_add_co_u32 v3, vcc_lo, v7, v3
	s_delay_alu instid0(VALU_DEP_2) | instskip(SKIP_1) | instid1(VALU_DEP_1)
	v_add_nc_u32_e32 v4, v4, v10
	s_wait_alu 0xfffd
	v_add_co_ci_u32_e64 v4, null, v8, v4, vcc_lo
	global_load_b64 v[3:4], v[3:4], off scope:SCOPE_SYS
	s_wait_loadcnt 0x0
	global_atomic_cmpswap_b64 v[8:9], v2, v[3:6], s[2:3] offset:24 th:TH_ATOMIC_RETURN scope:SCOPE_SYS
	s_wait_loadcnt 0x0
	global_inv scope:SCOPE_SYS
	v_cmpx_ne_u64_e64 v[8:9], v[5:6]
	s_cbranch_execz .LBB6_2876
; %bb.2873:
	s_mov_b32 s5, 0
.LBB6_2874:                             ; =>This Inner Loop Header: Depth=1
	s_sleep 1
	s_clause 0x1
	global_load_b64 v[3:4], v2, s[2:3] offset:40
	global_load_b64 v[10:11], v2, s[2:3]
	v_dual_mov_b32 v5, v8 :: v_dual_mov_b32 v6, v9
	s_wait_loadcnt 0x1
	s_delay_alu instid0(VALU_DEP_1) | instskip(NEXT) | instid1(VALU_DEP_2)
	v_and_b32_e32 v3, v3, v5
	v_and_b32_e32 v4, v4, v6
	s_wait_loadcnt 0x0
	s_delay_alu instid0(VALU_DEP_2) | instskip(NEXT) | instid1(VALU_DEP_1)
	v_mad_co_u64_u32 v[7:8], null, v3, 24, v[10:11]
	v_mov_b32_e32 v3, v8
	s_delay_alu instid0(VALU_DEP_1) | instskip(NEXT) | instid1(VALU_DEP_1)
	v_mad_co_u64_u32 v[3:4], null, v4, 24, v[3:4]
	v_mov_b32_e32 v8, v3
	global_load_b64 v[3:4], v[7:8], off scope:SCOPE_SYS
	s_wait_loadcnt 0x0
	global_atomic_cmpswap_b64 v[8:9], v2, v[3:6], s[2:3] offset:24 th:TH_ATOMIC_RETURN scope:SCOPE_SYS
	s_wait_loadcnt 0x0
	global_inv scope:SCOPE_SYS
	v_cmp_eq_u64_e32 vcc_lo, v[8:9], v[5:6]
	s_wait_alu 0xfffe
	s_or_b32 s5, vcc_lo, s5
	s_wait_alu 0xfffe
	s_and_not1_b32 exec_lo, exec_lo, s5
	s_cbranch_execnz .LBB6_2874
; %bb.2875:
	s_or_b32 exec_lo, exec_lo, s5
.LBB6_2876:
	s_wait_alu 0xfffe
	s_or_b32 exec_lo, exec_lo, s4
.LBB6_2877:
	s_wait_alu 0xfffe
	s_or_b32 exec_lo, exec_lo, s1
	v_readfirstlane_b32 s5, v9
	v_mov_b32_e32 v2, 0
	v_readfirstlane_b32 s4, v8
	s_mov_b32 s1, exec_lo
	s_clause 0x1
	global_load_b64 v[10:11], v2, s[2:3] offset:40
	global_load_b128 v[4:7], v2, s[2:3]
	s_wait_loadcnt 0x1
	s_wait_alu 0xf1ff
	v_and_b32_e32 v11, s5, v11
	v_and_b32_e32 v10, s4, v10
	s_delay_alu instid0(VALU_DEP_2) | instskip(NEXT) | instid1(VALU_DEP_2)
	v_mul_lo_u32 v3, 24, v11
	v_mul_lo_u32 v8, 0, v10
	v_mul_hi_u32 v9, 24, v10
	v_mul_lo_u32 v12, 24, v10
	s_delay_alu instid0(VALU_DEP_3) | instskip(SKIP_1) | instid1(VALU_DEP_2)
	v_add_nc_u32_e32 v3, v3, v8
	s_wait_loadcnt 0x0
	v_add_co_u32 v8, vcc_lo, v4, v12
	s_delay_alu instid0(VALU_DEP_2) | instskip(SKIP_1) | instid1(VALU_DEP_1)
	v_add_nc_u32_e32 v3, v3, v9
	s_wait_alu 0xfffd
	v_add_co_ci_u32_e64 v9, null, v5, v3, vcc_lo
	s_and_saveexec_b32 s6, s0
	s_cbranch_execz .LBB6_2879
; %bb.2878:
	s_wait_alu 0xfffe
	v_dual_mov_b32 v12, s1 :: v_dual_mov_b32 v13, v2
	v_dual_mov_b32 v14, 2 :: v_dual_mov_b32 v15, 1
	global_store_b128 v[8:9], v[12:15], off offset:8
.LBB6_2879:
	s_wait_alu 0xfffe
	s_or_b32 exec_lo, exec_lo, s6
	v_lshlrev_b64_e32 v[10:11], 12, v[10:11]
	s_mov_b32 s8, 0
	v_and_or_b32 v0, 0xffffff1d, v0, 34
	s_wait_alu 0xfffe
	s_mov_b32 s11, s8
	s_mov_b32 s9, s8
	;; [unrolled: 1-line block ×3, first 2 shown]
	v_add_co_u32 v6, vcc_lo, v6, v10
	s_wait_alu 0xfffd
	v_add_co_ci_u32_e64 v7, null, v7, v11, vcc_lo
	v_mov_b32_e32 v3, v2
	s_delay_alu instid0(VALU_DEP_3)
	v_readfirstlane_b32 s6, v6
	s_wait_alu 0xfffe
	v_dual_mov_b32 v13, s11 :: v_dual_mov_b32 v10, s8
	v_readfirstlane_b32 s7, v7
	v_dual_mov_b32 v12, s10 :: v_dual_mov_b32 v11, s9
	s_clause 0x3
	global_store_b128 v30, v[0:3], s[6:7]
	global_store_b128 v30, v[10:13], s[6:7] offset:16
	global_store_b128 v30, v[10:13], s[6:7] offset:32
	;; [unrolled: 1-line block ×3, first 2 shown]
	s_and_saveexec_b32 s1, s0
	s_cbranch_execz .LBB6_2887
; %bb.2880:
	v_mov_b32_e32 v6, 0
	s_mov_b32 s6, exec_lo
	s_clause 0x1
	global_load_b64 v[12:13], v6, s[2:3] offset:32 scope:SCOPE_SYS
	global_load_b64 v[0:1], v6, s[2:3] offset:40
	v_dual_mov_b32 v11, s5 :: v_dual_mov_b32 v10, s4
	s_wait_loadcnt 0x0
	v_and_b32_e32 v1, s5, v1
	v_and_b32_e32 v0, s4, v0
	s_delay_alu instid0(VALU_DEP_2) | instskip(NEXT) | instid1(VALU_DEP_2)
	v_mul_lo_u32 v1, 24, v1
	v_mul_lo_u32 v2, 0, v0
	v_mul_hi_u32 v3, 24, v0
	v_mul_lo_u32 v0, 24, v0
	s_delay_alu instid0(VALU_DEP_3) | instskip(NEXT) | instid1(VALU_DEP_2)
	v_add_nc_u32_e32 v1, v1, v2
	v_add_co_u32 v4, vcc_lo, v4, v0
	s_delay_alu instid0(VALU_DEP_2) | instskip(SKIP_1) | instid1(VALU_DEP_1)
	v_add_nc_u32_e32 v1, v1, v3
	s_wait_alu 0xfffd
	v_add_co_ci_u32_e64 v5, null, v5, v1, vcc_lo
	global_store_b64 v[4:5], v[12:13], off
	global_wb scope:SCOPE_SYS
	s_wait_storecnt 0x0
	global_atomic_cmpswap_b64 v[2:3], v6, v[10:13], s[2:3] offset:32 th:TH_ATOMIC_RETURN scope:SCOPE_SYS
	s_wait_loadcnt 0x0
	v_cmpx_ne_u64_e64 v[2:3], v[12:13]
	s_cbranch_execz .LBB6_2883
; %bb.2881:
	s_mov_b32 s7, 0
.LBB6_2882:                             ; =>This Inner Loop Header: Depth=1
	v_dual_mov_b32 v0, s4 :: v_dual_mov_b32 v1, s5
	s_sleep 1
	global_store_b64 v[4:5], v[2:3], off
	global_wb scope:SCOPE_SYS
	s_wait_storecnt 0x0
	global_atomic_cmpswap_b64 v[0:1], v6, v[0:3], s[2:3] offset:32 th:TH_ATOMIC_RETURN scope:SCOPE_SYS
	s_wait_loadcnt 0x0
	v_cmp_eq_u64_e32 vcc_lo, v[0:1], v[2:3]
	v_dual_mov_b32 v3, v1 :: v_dual_mov_b32 v2, v0
	s_wait_alu 0xfffe
	s_or_b32 s7, vcc_lo, s7
	s_wait_alu 0xfffe
	s_and_not1_b32 exec_lo, exec_lo, s7
	s_cbranch_execnz .LBB6_2882
.LBB6_2883:
	s_wait_alu 0xfffe
	s_or_b32 exec_lo, exec_lo, s6
	v_mov_b32_e32 v3, 0
	s_mov_b32 s7, exec_lo
	s_mov_b32 s6, exec_lo
	s_wait_alu 0xfffe
	v_mbcnt_lo_u32_b32 v2, s7, 0
	global_load_b64 v[0:1], v3, s[2:3] offset:16
	v_cmpx_eq_u32_e32 0, v2
	s_cbranch_execz .LBB6_2885
; %bb.2884:
	s_bcnt1_i32_b32 s7, s7
	s_wait_alu 0xfffe
	v_mov_b32_e32 v2, s7
	global_wb scope:SCOPE_SYS
	s_wait_loadcnt 0x0
	s_wait_storecnt 0x0
	global_atomic_add_u64 v[0:1], v[2:3], off offset:8 scope:SCOPE_SYS
.LBB6_2885:
	s_or_b32 exec_lo, exec_lo, s6
	s_wait_loadcnt 0x0
	global_load_b64 v[2:3], v[0:1], off offset:16
	s_wait_loadcnt 0x0
	v_cmp_eq_u64_e32 vcc_lo, 0, v[2:3]
	s_cbranch_vccnz .LBB6_2887
; %bb.2886:
	global_load_b32 v0, v[0:1], off offset:24
	v_mov_b32_e32 v1, 0
	s_wait_loadcnt 0x0
	v_readfirstlane_b32 s6, v0
	global_wb scope:SCOPE_SYS
	s_wait_storecnt 0x0
	global_store_b64 v[2:3], v[0:1], off scope:SCOPE_SYS
	s_and_b32 m0, s6, 0xffffff
	s_sendmsg sendmsg(MSG_INTERRUPT)
.LBB6_2887:
	s_wait_alu 0xfffe
	s_or_b32 exec_lo, exec_lo, s1
	s_branch .LBB6_2891
.LBB6_2888:                             ;   in Loop: Header=BB6_2891 Depth=1
	s_wait_alu 0xfffe
	s_or_b32 exec_lo, exec_lo, s1
	s_delay_alu instid0(VALU_DEP_1)
	v_readfirstlane_b32 s1, v0
	s_cmp_eq_u32 s1, 0
	s_cbranch_scc1 .LBB6_2890
; %bb.2889:                             ;   in Loop: Header=BB6_2891 Depth=1
	s_sleep 1
	s_cbranch_execnz .LBB6_2891
	s_branch .LBB6_2893
.LBB6_2890:
	s_branch .LBB6_2893
.LBB6_2891:                             ; =>This Inner Loop Header: Depth=1
	v_mov_b32_e32 v0, 1
	s_and_saveexec_b32 s1, s0
	s_cbranch_execz .LBB6_2888
; %bb.2892:                             ;   in Loop: Header=BB6_2891 Depth=1
	global_load_b32 v0, v[8:9], off offset:20 scope:SCOPE_SYS
	s_wait_loadcnt 0x0
	global_inv scope:SCOPE_SYS
	v_and_b32_e32 v0, 1, v0
	s_branch .LBB6_2888
.LBB6_2893:
	s_and_saveexec_b32 s6, s0
	s_cbranch_execz .LBB6_2897
; %bb.2894:
	v_mov_b32_e32 v6, 0
	s_clause 0x2
	global_load_b64 v[0:1], v6, s[2:3] offset:40
	global_load_b64 v[9:10], v6, s[2:3] offset:24 scope:SCOPE_SYS
	global_load_b64 v[2:3], v6, s[2:3]
	s_wait_loadcnt 0x2
	v_readfirstlane_b32 s8, v0
	v_readfirstlane_b32 s9, v1
	s_add_nc_u64 s[0:1], s[8:9], 1
	s_wait_alu 0xfffe
	s_add_nc_u64 s[4:5], s[0:1], s[4:5]
	s_wait_alu 0xfffe
	s_cmp_eq_u64 s[4:5], 0
	s_cselect_b32 s1, s1, s5
	s_cselect_b32 s0, s0, s4
	s_wait_alu 0xfffe
	v_mov_b32_e32 v8, s1
	s_and_b64 s[4:5], s[0:1], s[8:9]
	v_mov_b32_e32 v7, s0
	s_wait_alu 0xfffe
	s_mul_u64 s[4:5], s[4:5], 24
	s_wait_loadcnt 0x0
	s_wait_alu 0xfffe
	v_add_co_u32 v4, vcc_lo, v2, s4
	s_wait_alu 0xfffd
	v_add_co_ci_u32_e64 v5, null, s5, v3, vcc_lo
	global_store_b64 v[4:5], v[9:10], off
	global_wb scope:SCOPE_SYS
	s_wait_storecnt 0x0
	global_atomic_cmpswap_b64 v[2:3], v6, v[7:10], s[2:3] offset:24 th:TH_ATOMIC_RETURN scope:SCOPE_SYS
	s_wait_loadcnt 0x0
	v_cmp_ne_u64_e32 vcc_lo, v[2:3], v[9:10]
	s_and_b32 exec_lo, exec_lo, vcc_lo
	s_cbranch_execz .LBB6_2897
; %bb.2895:
	s_mov_b32 s4, 0
.LBB6_2896:                             ; =>This Inner Loop Header: Depth=1
	v_dual_mov_b32 v0, s0 :: v_dual_mov_b32 v1, s1
	s_sleep 1
	global_store_b64 v[4:5], v[2:3], off
	global_wb scope:SCOPE_SYS
	s_wait_storecnt 0x0
	global_atomic_cmpswap_b64 v[0:1], v6, v[0:3], s[2:3] offset:24 th:TH_ATOMIC_RETURN scope:SCOPE_SYS
	s_wait_loadcnt 0x0
	v_cmp_eq_u64_e32 vcc_lo, v[0:1], v[2:3]
	v_dual_mov_b32 v3, v1 :: v_dual_mov_b32 v2, v0
	s_wait_alu 0xfffe
	s_or_b32 s4, vcc_lo, s4
	s_wait_alu 0xfffe
	s_and_not1_b32 exec_lo, exec_lo, s4
	s_cbranch_execnz .LBB6_2896
.LBB6_2897:
	s_wait_alu 0xfffe
	s_or_b32 exec_lo, exec_lo, s6
.LBB6_2898:
	s_getpc_b64 s[0:1]
	s_wait_alu 0xfffe
	s_sext_i32_i16 s1, s1
	s_add_co_u32 s0, s0, .str.29@rel32@lo+12
	s_wait_alu 0xfffe
	s_add_co_ci_u32 s1, s1, .str.29@rel32@hi+24
	s_getpc_b64 s[2:3]
	s_wait_alu 0xfffe
	s_sext_i32_i16 s3, s3
	s_add_co_u32 s2, s2, .str.19@rel32@lo+12
	s_wait_alu 0xfffe
	s_add_co_ci_u32 s3, s3, .str.19@rel32@hi+24
	s_getpc_b64 s[4:5]
	s_wait_alu 0xfffe
	s_sext_i32_i16 s5, s5
	s_add_co_u32 s4, s4, __PRETTY_FUNCTION__._ZN7VecsMemIjLi8192EE5fetchEi@rel32@lo+12
	s_wait_alu 0xfffe
	s_add_co_ci_u32 s5, s5, __PRETTY_FUNCTION__._ZN7VecsMemIjLi8192EE5fetchEi@rel32@hi+24
	s_wait_loadcnt 0x0
	v_dual_mov_b32 v0, s0 :: v_dual_mov_b32 v1, s1
	v_dual_mov_b32 v2, s2 :: v_dual_mov_b32 v3, s3
	;; [unrolled: 1-line block ×3, first 2 shown]
	s_wait_alu 0xfffe
	v_mov_b32_e32 v6, s5
	s_getpc_b64 s[6:7]
	s_wait_alu 0xfffe
	s_sext_i32_i16 s7, s7
	s_add_co_u32 s6, s6, __assert_fail@rel32@lo+12
	s_wait_alu 0xfffe
	s_add_co_ci_u32 s7, s7, __assert_fail@rel32@hi+24
	s_mov_b64 s[8:9], s[52:53]
	s_wait_alu 0xfffe
	s_swappc_b64 s[30:31], s[6:7]
	s_or_b32 s64, s64, exec_lo
.LBB6_2899:
	s_wait_alu 0xfffe
	s_or_b32 exec_lo, exec_lo, s17
	s_delay_alu instid0(SALU_CYCLE_1)
	s_and_not1_b32 s0, s54, exec_lo
	s_and_b32 s1, s64, exec_lo
	s_wait_alu 0xfffe
	s_or_b32 s54, s0, s1
	s_or_b32 exec_lo, exec_lo, s55
	s_wait_alu 0xfffe
	s_and_saveexec_b32 s0, s54
	s_cbranch_execz .LBB6_2900
; %bb.2902:
	s_getpc_b64 s[84:85]
.Lpost_getpc1:
	s_wait_alu 0xfffe
	s_add_co_u32 s84, s84, (.LBB6_3-.Lpost_getpc1)&4294967295
	s_add_co_ci_u32 s85, s85, (.LBB6_3-.Lpost_getpc1)>>32
	s_wait_alu 0xfffe
	s_setpc_b64 s[84:85]
.LBB6_2900:
	s_getpc_b64 s[84:85]
.Lpost_getpc0:
	s_wait_alu 0xfffe
	s_add_co_u32 s84, s84, (.LBB6_4-.Lpost_getpc0)&4294967295
	s_add_co_ci_u32 s85, s85, (.LBB6_4-.Lpost_getpc0)>>32
	s_wait_alu 0xfffe
	s_setpc_b64 s[84:85]
.Lfunc_end6:
	.size	_ZN3sop12sopFactorRecEPNS_3SopEiP7VecsMemIjLi8192EEPN8subgUtil4SubgILi256EEE, .Lfunc_end6-_ZN3sop12sopFactorRecEPNS_3SopEiP7VecsMemIjLi8192EEPN8subgUtil4SubgILi256EEE
                                        ; -- End function
	.set .L_ZN3sop12sopFactorRecEPNS_3SopEiP7VecsMemIjLi8192EEPN8subgUtil4SubgILi256EEE.num_vgpr, max(83, .L__assert_fail.num_vgpr, .L_ZN3sop23sopFactorTrivialCubeRecEjiiPN8subgUtil4SubgILi256EEE.num_vgpr, .L_ZN3sop19sopFactorTrivialRecEPjiiPN8subgUtil4SubgILi256EEE.num_vgpr)
	.set .L_ZN3sop12sopFactorRecEPNS_3SopEiP7VecsMemIjLi8192EEPN8subgUtil4SubgILi256EEE.num_agpr, max(0, .L__assert_fail.num_agpr, .L_ZN3sop23sopFactorTrivialCubeRecEjiiPN8subgUtil4SubgILi256EEE.num_agpr, .L_ZN3sop19sopFactorTrivialRecEPjiiPN8subgUtil4SubgILi256EEE.num_agpr)
	.set .L_ZN3sop12sopFactorRecEPNS_3SopEiP7VecsMemIjLi8192EEPN8subgUtil4SubgILi256EEE.numbered_sgpr, max(86, .L__assert_fail.numbered_sgpr, .L_ZN3sop23sopFactorTrivialCubeRecEjiiPN8subgUtil4SubgILi256EEE.numbered_sgpr, .L_ZN3sop19sopFactorTrivialRecEPjiiPN8subgUtil4SubgILi256EEE.numbered_sgpr)
	.set .L_ZN3sop12sopFactorRecEPNS_3SopEiP7VecsMemIjLi8192EEPN8subgUtil4SubgILi256EEE.num_named_barrier, max(0, .L__assert_fail.num_named_barrier, .L_ZN3sop23sopFactorTrivialCubeRecEjiiPN8subgUtil4SubgILi256EEE.num_named_barrier, .L_ZN3sop19sopFactorTrivialRecEPjiiPN8subgUtil4SubgILi256EEE.num_named_barrier)
	.set .L_ZN3sop12sopFactorRecEPNS_3SopEiP7VecsMemIjLi8192EEPN8subgUtil4SubgILi256EEE.private_seg_size, 176+max(.L__assert_fail.private_seg_size, .L_ZN3sop23sopFactorTrivialCubeRecEjiiPN8subgUtil4SubgILi256EEE.private_seg_size, .L_ZN3sop19sopFactorTrivialRecEPjiiPN8subgUtil4SubgILi256EEE.private_seg_size)
	.set .L_ZN3sop12sopFactorRecEPNS_3SopEiP7VecsMemIjLi8192EEPN8subgUtil4SubgILi256EEE.uses_vcc, or(1, .L__assert_fail.uses_vcc, .L_ZN3sop23sopFactorTrivialCubeRecEjiiPN8subgUtil4SubgILi256EEE.uses_vcc, .L_ZN3sop19sopFactorTrivialRecEPjiiPN8subgUtil4SubgILi256EEE.uses_vcc)
	.set .L_ZN3sop12sopFactorRecEPNS_3SopEiP7VecsMemIjLi8192EEPN8subgUtil4SubgILi256EEE.uses_flat_scratch, or(1, .L__assert_fail.uses_flat_scratch, .L_ZN3sop23sopFactorTrivialCubeRecEjiiPN8subgUtil4SubgILi256EEE.uses_flat_scratch, .L_ZN3sop19sopFactorTrivialRecEPjiiPN8subgUtil4SubgILi256EEE.uses_flat_scratch)
	.set .L_ZN3sop12sopFactorRecEPNS_3SopEiP7VecsMemIjLi8192EEPN8subgUtil4SubgILi256EEE.has_dyn_sized_stack, or(0, .L__assert_fail.has_dyn_sized_stack, .L_ZN3sop23sopFactorTrivialCubeRecEjiiPN8subgUtil4SubgILi256EEE.has_dyn_sized_stack, .L_ZN3sop19sopFactorTrivialRecEPjiiPN8subgUtil4SubgILi256EEE.has_dyn_sized_stack)
	.set .L_ZN3sop12sopFactorRecEPNS_3SopEiP7VecsMemIjLi8192EEPN8subgUtil4SubgILi256EEE.has_recursion, or(1, .L__assert_fail.has_recursion, .L_ZN3sop23sopFactorTrivialCubeRecEjiiPN8subgUtil4SubgILi256EEE.has_recursion, .L_ZN3sop19sopFactorTrivialRecEPjiiPN8subgUtil4SubgILi256EEE.has_recursion)
	.set .L_ZN3sop12sopFactorRecEPNS_3SopEiP7VecsMemIjLi8192EEPN8subgUtil4SubgILi256EEE.has_indirect_call, or(0, .L__assert_fail.has_indirect_call, .L_ZN3sop23sopFactorTrivialCubeRecEjiiPN8subgUtil4SubgILi256EEE.has_indirect_call, .L_ZN3sop19sopFactorTrivialRecEPjiiPN8subgUtil4SubgILi256EEE.has_indirect_call)
	.section	.AMDGPU.csdata,"",@progbits
; Function info:
; codeLenInByte = 139364
; TotalNumSgprs: 88
; NumVgprs: 83
; ScratchSize: 320
; MemoryBound: 0
	.text
	.protected	_Z8resynCutPKiS0_S0_S0_PKyPKjiS0_PyPiS6_S6_PjS0_S4_ii ; -- Begin function _Z8resynCutPKiS0_S0_S0_PKyPKjiS0_PyPiS6_S6_PjS0_S4_ii
	.globl	_Z8resynCutPKiS0_S0_S0_PKyPKjiS0_PyPiS6_S6_PjS0_S4_ii
	.p2align	8
	.type	_Z8resynCutPKiS0_S0_S0_PKyPKjiS0_PyPiS6_S6_PjS0_S4_ii,@function
_Z8resynCutPKiS0_S0_S0_PKyPKjiS0_PyPiS6_S6_PjS0_S4_ii: ; @_Z8resynCutPKiS0_S0_S0_PKyPKjiS0_PyPiS6_S6_PjS0_S4_ii
; %bb.0:
	s_clause 0x1
	s_load_b32 s4, s[0:1], 0x8c
	s_load_b32 s6, s[0:1], 0x7c
	v_mov_b32_e32 v61, 0
	s_mov_b32 s2, -1
	s_mov_b32 s3, 0
	s_mov_b32 s47, 0
	;; [unrolled: 1-line block ×16, first 2 shown]
	s_wait_kmcnt 0x0
	s_and_b32 s4, s4, 0xffff
	s_mov_b32 s28, 0
	v_mad_co_u64_u32 v[62:63], null, ttmp9, s4, v[0:1]
	s_mov_b32 s27, 0
	s_mov_b32 s26, 0
	;; [unrolled: 1-line block ×3, first 2 shown]
	s_add_nc_u64 s[84:85], s[0:1], 0x80
	s_mov_b32 s24, 0
	s_mov_b32 s23, 0
	s_mov_b32 s22, 0
	s_mov_b32 s21, 0
	s_mov_b32 s20, 0
	s_mov_b32 s19, 0
	s_mov_b32 s18, 0
	s_mov_b32 s17, 0
	s_mov_b32 s48, exec_lo
	s_mov_b32 s32, 0xa060
	s_clause 0x2
	scratch_store_b32 off, v61, off offset:4160
	scratch_store_b32 off, v61, off offset:36936
	;; [unrolled: 1-line block ×3, first 2 shown]
	v_cmpx_gt_i32_e64 s6, v62
	s_cbranch_execz .LBB7_319
; %bb.1:
	s_load_b128 s[8:11], s[0:1], 0x20
                                        ; implicit-def: $vgpr77 : SGPR spill to VGPR lane
	s_mov_b64 s[2:3], src_private_base
	v_writelane_b32 v77, s48, 0
                                        ; implicit-def: $vgpr76 : SGPR spill to VGPR lane
	v_dual_mov_b32 v43, 0x9050 :: v_dual_mov_b32 v72, 3
	v_mov_b32_e32 v73, 1
	s_mov_b32 s104, 0
	v_writelane_b32 v77, s2, 1
                                        ; implicit-def: $sgpr87
                                        ; implicit-def: $sgpr42
                                        ; implicit-def: $sgpr83
                                        ; implicit-def: $sgpr86
                                        ; implicit-def: $vgpr44
                                        ; implicit-def: $vgpr45
	v_writelane_b32 v77, s3, 2
	s_wait_kmcnt 0x0
	v_writelane_b32 v77, s8, 3
	v_writelane_b32 v77, s9, 4
	;; [unrolled: 1-line block ×4, first 2 shown]
	s_load_b32 s8, s[0:1], 0x30
	s_load_b32 s2, s[84:85], 0x0
	s_clause 0x2
	s_load_b256 s[96:103], s[0:1], 0x0
	s_load_b256 s[12:19], s[0:1], 0x38
	s_load_b64 s[10:11], s[0:1], 0x68
	s_wait_kmcnt 0x0
	s_ashr_i32 s9, s8, 31
	v_writelane_b32 v77, s12, 7
	v_writelane_b32 v77, s13, 8
	;; [unrolled: 1-line block ×8, first 2 shown]
	s_load_b128 s[12:15], s[0:1], 0x58
	s_movk_i32 s0, 0x1044
	s_mov_b32 s1, 0
	v_writelane_b32 v77, s10, 15
	v_writelane_b32 v77, s11, 16
	s_wait_kmcnt 0x0
	v_writelane_b32 v77, s12, 17
	v_writelane_b32 v77, s13, 18
	;; [unrolled: 1-line block ×4, first 2 shown]
	s_wait_alu 0xfffe
	v_writelane_b32 v77, s0, 21
	s_mov_b32 s0, 0x9858
	s_wait_alu 0xfffe
	v_writelane_b32 v77, s0, 22
	s_lshl_b32 s0, s6, 1
	v_writelane_b32 v77, s6, 23
	s_wait_alu 0xfffe
	v_writelane_b32 v77, s0, 24
	v_writelane_b32 v77, s1, 25
	s_mov_b32 s1, 2
	v_writelane_b32 v77, s0, 26
	s_wait_alu 0xfffe
	v_writelane_b32 v77, s1, 27
	s_add_co_i32 s0, s0, -1
	s_wait_alu 0xfffe
	v_writelane_b32 v77, s0, 28
	s_mul_i32 s0, s2, s4
	s_wait_alu 0xfffe
	v_writelane_b32 v77, s0, 29
	v_writelane_b32 v77, s8, 30
	s_sub_nc_u64 s[0:1], 0, s[8:9]
	s_wait_alu 0xfffe
	v_writelane_b32 v76, s0, 0
	v_writelane_b32 v77, s9, 31
	;; [unrolled: 1-line block ×3, first 2 shown]
                                        ; implicit-def: $sgpr0
                                        ; kill: killed $sgpr0
                                        ; implicit-def: $sgpr0
                                        ; kill: killed $sgpr0
	;; [unrolled: 2-line block ×26, first 2 shown]
	s_branch .LBB7_15
.LBB7_2:                                ;   in Loop: Header=BB7_15 Depth=1
	s_wait_alu 0xfffe
	s_or_b32 exec_lo, exec_lo, s41
	s_delay_alu instid0(SALU_CYCLE_1)
	s_and_not1_b32 s23, s23, exec_lo
	s_and_b32 s38, s38, exec_lo
	s_and_not1_b32 s20, s20, exec_lo
	s_and_b32 s33, s33, exec_lo
	;; [unrolled: 2-line block ×11, first 2 shown]
	s_wait_alu 0xfffe
	s_or_b32 s23, s23, s38
	s_and_b32 s38, s40, exec_lo
	s_and_b32 s37, s37, exec_lo
	;; [unrolled: 1-line block ×5, first 2 shown]
	s_or_b32 s20, s20, s33
	s_or_b32 s1, s1, s31
	;; [unrolled: 1-line block ×10, first 2 shown]
	s_or_not1_b32 s24, s13, exec_lo
.LBB7_3:                                ;   in Loop: Header=BB7_15 Depth=1
	s_wait_alu 0xfffe
	s_or_b32 exec_lo, exec_lo, s14
	s_delay_alu instid0(SALU_CYCLE_1)
	s_and_not1_b32 s0, s11, exec_lo
	s_and_b32 s11, s23, exec_lo
	s_and_b32 s13, s20, exec_lo
	s_wait_alu 0xfffe
	s_or_b32 s11, s0, s11
	s_and_b32 s0, s1, exec_lo
	s_and_not1_b32 s1, s10, exec_lo
	s_and_b32 s10, s21, exec_lo
	s_and_not1_b32 s9, s9, exec_lo
	s_wait_alu 0xfffe
	s_or_b32 s10, s1, s10
	s_and_not1_b32 s1, s6, exec_lo
	s_and_b32 s6, s18, exec_lo
	s_and_b32 s20, s22, exec_lo
	s_wait_alu 0xfffe
	s_or_b32 s6, s1, s6
	s_and_not1_b32 s1, s7, exec_lo
	s_and_b32 s7, s16, exec_lo
	s_and_not1_b32 s3, s3, exec_lo
	s_and_b32 s18, s19, exec_lo
	;; [unrolled: 2-line block ×3, first 2 shown]
	s_wait_alu 0xfffe
	s_or_b32 s7, s1, s7
	s_and_not1_b32 s1, s4, exec_lo
	s_and_b32 s2, s2, exec_lo
	s_and_not1_b32 s5, s5, exec_lo
	s_and_b32 s15, s15, exec_lo
	s_and_b32 s27, s38, exec_lo
	;; [unrolled: 1-line block ×6, first 2 shown]
	s_or_b32 s9, s9, s20
	s_or_b32 s3, s3, s18
	;; [unrolled: 1-line block ×3, first 2 shown]
	s_wait_alu 0xfffe
	s_or_b32 s4, s1, s2
	s_or_b32 s5, s5, s15
	s_or_not1_b32 s1, s24, exec_lo
.LBB7_4:                                ;   in Loop: Header=BB7_15 Depth=1
	s_wait_alu 0xfffe
	s_or_b32 exec_lo, exec_lo, s12
	s_delay_alu instid0(SALU_CYCLE_1)
	s_and_not1_b32 s2, s57, exec_lo
	s_and_b32 s11, s11, exec_lo
	s_and_b32 s8, s8, exec_lo
	s_wait_alu 0xfffe
	s_or_b32 s57, s2, s11
	s_and_b32 s11, s0, exec_lo
	s_and_b32 s2, s6, exec_lo
	;; [unrolled: 1-line block ×3, first 2 shown]
	s_and_not1_b32 s3, s53, exec_lo
	s_and_b32 s6, s7, exec_lo
	s_and_not1_b32 s7, s55, exec_lo
	s_wait_alu 0xfffe
	s_or_b32 s53, s3, s6
	s_and_not1_b32 s3, s56, exec_lo
	s_and_b32 s4, s4, exec_lo
	s_and_not1_b32 s6, s54, exec_lo
	s_and_b32 s5, s5, exec_lo
	s_and_b32 s18, s27, exec_lo
	;; [unrolled: 1-line block ×9, first 2 shown]
	s_or_b32 s55, s7, s8
	s_wait_alu 0xfffe
	s_or_b32 s56, s3, s4
	s_or_b32 s54, s6, s5
	s_or_not1_b32 s1, s1, exec_lo
.LBB7_5:                                ;   in Loop: Header=BB7_15 Depth=1
	s_wait_alu 0xfffe
	s_or_b32 exec_lo, exec_lo, s58
	s_delay_alu instid0(SALU_CYCLE_1)
	s_or_not1_b32 s21, s57, exec_lo
	s_and_b32 s20, s18, exec_lo
	s_and_b32 s19, s17, exec_lo
	;; [unrolled: 1-line block ×15, first 2 shown]
	s_or_not1_b32 s1, s1, exec_lo
.LBB7_6:                                ;   in Loop: Header=BB7_15 Depth=1
	s_wait_alu 0xfffe
	s_or_b32 exec_lo, exec_lo, s52
	s_delay_alu instid0(SALU_CYCLE_1)
	s_and_b32 s21, s21, exec_lo
	s_and_b32 s17, s20, exec_lo
	;; [unrolled: 1-line block ×16, first 2 shown]
	s_xor_b32 s3, exec_lo, -1
	s_or_not1_b32 s1, s1, exec_lo
.LBB7_7:                                ;   in Loop: Header=BB7_15 Depth=1
	v_readlane_b32 s14, v75, 20
	s_or_b32 exec_lo, exec_lo, s14
	s_wait_alu 0xfffe
	s_and_b32 s14, s13, exec_lo
	s_and_b32 s13, s12, exec_lo
	;; [unrolled: 1-line block ×13, first 2 shown]
	v_readlane_b32 s3, v75, 15
	s_and_b32 s18, s21, exec_lo
	s_and_b32 s16, s20, exec_lo
	v_readlane_b32 s20, v75, 17
	v_readlane_b32 s21, v75, 19
	s_and_not1_b32 s3, s3, exec_lo
	s_and_b32 s15, s19, exec_lo
	s_wait_alu 0xfffe
	v_writelane_b32 v75, s3, 15
	s_and_b32 s17, s17, exec_lo
	s_and_not1_b32 s20, s20, exec_lo
	s_and_not1_b32 s21, s21, exec_lo
	s_or_not1_b32 s1, s1, exec_lo
	v_readlane_b32 s3, v75, 14
	s_and_not1_b32 s3, s3, exec_lo
	s_wait_alu 0xfffe
	v_writelane_b32 v75, s3, 14
	s_delay_alu instid0(VALU_DEP_1)
	v_readlane_b32 s19, v75, 18
	v_readlane_b32 s3, v75, 13
	s_and_not1_b32 s19, s19, exec_lo
	s_and_not1_b32 s3, s3, exec_lo
	s_wait_alu 0xfffe
	v_writelane_b32 v75, s3, 13
.LBB7_8:                                ;   in Loop: Header=BB7_15 Depth=1
	s_delay_alu instid0(VALU_DEP_1)
	v_readlane_b32 s3, v75, 16
	s_or_b32 exec_lo, exec_lo, s3
	s_mov_b32 s3, s20
	s_and_b32 s20, s18, exec_lo
	s_mov_b32 s24, s19
	s_and_b32 s19, s17, exec_lo
	s_and_b32 s18, s16, exec_lo
	;; [unrolled: 1-line block ×17, first 2 shown]
	v_readlane_b32 s2, v75, 8
	v_readlane_b32 s21, v75, 15
	;; [unrolled: 1-line block ×4, first 2 shown]
	s_wait_alu 0xfffe
	s_and_b32 s3, s3, exec_lo
	s_and_not1_b32 s2, s2, exec_lo
	s_and_b32 s21, s21, exec_lo
	s_and_not1_b32 s22, s22, exec_lo
	s_wait_alu 0xfffe
	s_or_b32 s2, s2, s21
	s_and_b32 s23, s23, exec_lo
	s_wait_alu 0xfffe
	v_writelane_b32 v75, s2, 8
	s_or_b32 s2, s22, s23
	s_and_b32 s21, s24, exec_lo
	s_wait_alu 0xfffe
	v_writelane_b32 v75, s2, 7
	s_delay_alu instid0(VALU_DEP_1)
	v_readlane_b32 s2, v75, 6
	v_readlane_b32 s22, v75, 5
	;; [unrolled: 1-line block ×3, first 2 shown]
	s_and_not1_b32 s2, s2, exec_lo
	s_and_not1_b32 s22, s22, exec_lo
	s_wait_alu 0xfffe
	s_or_b32 s2, s2, s21
	s_and_b32 s23, s23, exec_lo
	s_wait_alu 0xfffe
	v_writelane_b32 v75, s2, 6
	s_or_b32 s2, s22, s23
	s_wait_alu 0xfffe
	v_writelane_b32 v75, s2, 5
	s_or_not1_b32 s2, s1, exec_lo
.LBB7_9:                                ;   in Loop: Header=BB7_15 Depth=1
	s_delay_alu instid0(VALU_DEP_1) | instskip(SKIP_1) | instid1(SALU_CYCLE_1)
	v_readlane_b32 s1, v75, 9
	s_or_b32 exec_lo, exec_lo, s1
	s_and_b32 s21, s17, exec_lo
	s_and_b32 s17, s14, exec_lo
	s_and_b32 s14, s11, exec_lo
	s_and_b32 s11, s8, exec_lo
	s_and_b32 s8, s5, exec_lo
	s_and_b32 s5, s0, exec_lo
	v_readlane_b32 s0, v75, 8
	s_and_b32 s24, s20, exec_lo
	s_and_b32 s20, s16, exec_lo
	s_and_b32 s16, s13, exec_lo
	s_and_b32 s13, s10, exec_lo
	s_and_b32 s10, s7, exec_lo
	s_and_b32 s7, s4, exec_lo
	s_and_b32 s4, s0, exec_lo
	v_readlane_b32 s0, v75, 7
	s_and_b32 s23, s19, exec_lo
	;; [unrolled: 8-line block ×3, first 2 shown]
	s_and_b32 s1, s0, exec_lo
	v_readlane_b32 s0, v75, 5
	s_or_not1_b32 s18, s0, exec_lo
	s_wait_alu 0xfffe
	s_or_not1_b32 s0, s2, exec_lo
.LBB7_10:                               ;   in Loop: Header=BB7_15 Depth=1
	v_readlane_b32 s2, v75, 4
	s_or_b32 exec_lo, exec_lo, s2
	s_delay_alu instid0(SALU_CYCLE_1)
	s_and_b32 s2, s1, exec_lo
	s_and_b32 s1, s18, exec_lo
	v_readlane_b32 s18, v76, 31
	s_and_b32 s24, s24, exec_lo
	s_and_b32 s23, s23, exec_lo
	;; [unrolled: 1-line block ×4, first 2 shown]
	s_and_not1_b32 s18, s18, exec_lo
	s_and_b32 s20, s20, exec_lo
	s_wait_alu 0xfffe
	v_writelane_b32 v76, s18, 31
	v_readlane_b32 s18, v75, 0
	s_and_b32 s19, s19, exec_lo
	s_and_b32 s17, s17, exec_lo
	;; [unrolled: 1-line block ×4, first 2 shown]
	s_and_not1_b32 s18, s18, exec_lo
	s_and_b32 s14, s14, exec_lo
	s_wait_alu 0xfffe
	v_writelane_b32 v75, s18, 0
	s_and_b32 s13, s13, exec_lo
	s_and_b32 s12, s12, exec_lo
	;; [unrolled: 1-line block ×4, first 2 shown]
	v_readlane_b32 s18, v75, 1
	s_and_b32 s9, s9, exec_lo
	s_and_b32 s8, s8, exec_lo
	;; [unrolled: 1-line block ×4, first 2 shown]
	s_and_not1_b32 s18, s18, exec_lo
	s_and_b32 s5, s5, exec_lo
	s_wait_alu 0xfffe
	v_writelane_b32 v75, s18, 1
	s_and_b32 s4, s4, exec_lo
	s_and_b32 s3, s3, exec_lo
	s_or_not1_b32 s0, s0, exec_lo
	s_delay_alu instid0(VALU_DEP_1) | instskip(SKIP_3) | instid1(VALU_DEP_1)
	v_readlane_b32 s18, v75, 2
	s_and_not1_b32 s18, s18, exec_lo
	s_wait_alu 0xfffe
	v_writelane_b32 v75, s18, 2
	v_readlane_b32 s25, v75, 3
.LBB7_11:                               ;   in Loop: Header=BB7_15 Depth=1
	s_wait_alu 0xfffe
	s_delay_alu instid0(VALU_DEP_1) | instskip(NEXT) | instid1(SALU_CYCLE_1)
	s_or_b32 exec_lo, exec_lo, s25
	s_and_b32 s27, s24, exec_lo
	s_and_b32 s24, s21, exec_lo
	s_and_b32 s21, s17, exec_lo
	s_and_b32 s17, s13, exec_lo
	s_and_b32 s13, s9, exec_lo
	s_and_b32 s9, s5, exec_lo
	s_and_b32 s5, s1, exec_lo
	v_readlane_b32 s1, v76, 31
	s_and_b32 s26, s23, exec_lo
	s_and_b32 s23, s20, exec_lo
	s_and_b32 s20, s16, exec_lo
	s_and_b32 s16, s12, exec_lo
	s_and_b32 s12, s8, exec_lo
	s_and_b32 s8, s4, exec_lo
	s_and_b32 s4, s1, exec_lo
	v_readlane_b32 s1, v75, 0
	;; [unrolled: 8-line block ×3, first 2 shown]
	s_and_b32 s18, s14, exec_lo
	s_and_b32 s14, s10, exec_lo
	s_and_b32 s10, s6, exec_lo
	s_and_b32 s6, s2, exec_lo
	s_and_b32 s2, s1, exec_lo
	v_readlane_b32 s1, v75, 2
	s_or_not1_b32 s0, s0, exec_lo
	s_and_b32 s1, s1, exec_lo
.LBB7_12:                               ;   in Loop: Header=BB7_15 Depth=1
	s_wait_alu 0xfffe
	s_or_b32 exec_lo, exec_lo, s43
	s_delay_alu instid0(SALU_CYCLE_1)
	s_and_b32 s28, s27, exec_lo
	s_and_b32 s27, s26, exec_lo
	;; [unrolled: 1-line block ×27, first 2 shown]
	s_xor_b32 s2, exec_lo, -1
	s_or_not1_b32 s0, s0, exec_lo
.LBB7_13:                               ;   in Loop: Header=BB7_15 Depth=1
	v_readlane_b32 s29, v76, 3
	s_or_b32 exec_lo, exec_lo, s29
	v_readlane_b32 s30, v76, 2
	s_and_not1_b32 s29, s86, exec_lo
	s_wait_alu 0xfffe
	s_and_b32 s28, s28, exec_lo
	s_or_not1_b32 s0, s0, exec_lo
	s_wait_alu 0xfffe
	s_or_b32 s86, s29, s28
	s_and_b32 s28, s27, exec_lo
	s_and_b32 s27, s26, exec_lo
	;; [unrolled: 1-line block ×27, first 2 shown]
	s_xor_b32 s2, exec_lo, -1
.LBB7_14:                               ;   in Loop: Header=BB7_15 Depth=1
	s_wait_alu 0xfffe
	s_or_b32 exec_lo, exec_lo, s30
	s_xor_b32 s28, s28, -1
	s_xor_b32 s27, s27, -1
	;; [unrolled: 1-line block ×28, first 2 shown]
	s_and_b32 s0, exec_lo, s0
	s_wait_alu 0xfffe
	s_or_b32 s104, s0, s104
	s_and_not1_b32 s0, s83, exec_lo
	s_and_b32 s29, s86, exec_lo
	s_and_b32 s28, s28, exec_lo
	s_wait_alu 0xfffe
	s_or_b32 s83, s0, s29
	v_readlane_b32 s29, v76, 4
	s_and_not1_b32 s0, s42, exec_lo
	s_and_b32 s27, s27, exec_lo
	s_wait_alu 0xfffe
	s_or_b32 s42, s0, s28
	s_and_b32 s26, s26, exec_lo
	s_and_not1_b32 s29, s29, exec_lo
	s_and_b32 s25, s25, exec_lo
	s_wait_alu 0xfffe
	s_or_b32 s0, s29, s27
	s_and_b32 s24, s24, exec_lo
	s_wait_alu 0xfffe
	v_writelane_b32 v76, s0, 4
	s_and_b32 s23, s23, exec_lo
	s_and_b32 s22, s22, exec_lo
	;; [unrolled: 1-line block ×4, first 2 shown]
	v_readlane_b32 s0, v76, 5
	v_readlane_b32 s27, v76, 6
	s_and_b32 s19, s19, exec_lo
	s_and_b32 s18, s18, exec_lo
	s_and_b32 s17, s17, exec_lo
	s_and_not1_b32 s0, s0, exec_lo
	s_and_not1_b32 s27, s27, exec_lo
	s_wait_alu 0xfffe
	s_or_b32 s0, s0, s26
	s_and_b32 s16, s16, exec_lo
	s_wait_alu 0xfffe
	v_writelane_b32 v76, s0, 5
	s_or_b32 s0, s27, s25
	s_and_b32 s15, s15, exec_lo
	s_and_b32 s14, s14, exec_lo
	;; [unrolled: 1-line block ×3, first 2 shown]
	s_wait_alu 0xfffe
	v_writelane_b32 v76, s0, 6
	s_and_b32 s12, s12, exec_lo
	s_and_b32 s11, s11, exec_lo
	;; [unrolled: 1-line block ×4, first 2 shown]
	v_readlane_b32 s0, v76, 7
	v_readlane_b32 s25, v76, 8
	s_and_b32 s8, s8, exec_lo
	s_and_b32 s7, s7, exec_lo
	s_and_b32 s6, s6, exec_lo
	s_and_not1_b32 s0, s0, exec_lo
	s_and_not1_b32 s25, s25, exec_lo
	s_wait_alu 0xfffe
	s_or_b32 s0, s0, s24
	s_and_b32 s5, s5, exec_lo
	s_wait_alu 0xfffe
	v_writelane_b32 v76, s0, 7
	s_or_b32 s0, s25, s23
	s_and_b32 s4, s4, exec_lo
	s_and_b32 s3, s3, exec_lo
	;; [unrolled: 1-line block ×3, first 2 shown]
	s_wait_alu 0xfffe
	v_writelane_b32 v76, s0, 8
	s_and_b32 s2, s2, exec_lo
	s_delay_alu instid0(VALU_DEP_1)
	v_readlane_b32 s0, v76, 9
	v_readlane_b32 s23, v76, 10
	s_and_not1_b32 s0, s0, exec_lo
	s_and_not1_b32 s23, s23, exec_lo
	s_wait_alu 0xfffe
	s_or_b32 s0, s0, s22
	s_wait_alu 0xfffe
	v_writelane_b32 v76, s0, 9
	s_or_b32 s0, s23, s21
	s_wait_alu 0xfffe
	v_writelane_b32 v76, s0, 10
	s_delay_alu instid0(VALU_DEP_1)
	v_readlane_b32 s0, v76, 11
	v_readlane_b32 s21, v76, 12
	s_and_not1_b32 s0, s0, exec_lo
	s_and_not1_b32 s21, s21, exec_lo
	s_wait_alu 0xfffe
	s_or_b32 s0, s0, s20
	s_wait_alu 0xfffe
	v_writelane_b32 v76, s0, 11
	s_or_b32 s0, s21, s19
	s_wait_alu 0xfffe
	v_writelane_b32 v76, s0, 12
	;; [unrolled: 12-line block ×9, first 2 shown]
	s_delay_alu instid0(VALU_DEP_1)
	v_readlane_b32 s0, v76, 27
	v_readlane_b32 s5, v76, 28
	s_and_not1_b32 s0, s0, exec_lo
	s_and_not1_b32 s5, s5, exec_lo
	s_wait_alu 0xfffe
	s_or_b32 s0, s0, s4
	s_wait_alu 0xfffe
	v_writelane_b32 v76, s0, 27
	s_or_b32 s0, s5, s3
	s_and_not1_b32 s3, s87, exec_lo
	s_wait_alu 0xfffe
	s_or_b32 s87, s3, s2
	v_writelane_b32 v76, s0, 28
	s_delay_alu instid0(VALU_DEP_1)
	v_readlane_b32 s0, v76, 29
	s_and_not1_b32 s0, s0, exec_lo
	s_wait_alu 0xfffe
	s_or_b32 s0, s0, s1
	s_wait_alu 0xfffe
	v_writelane_b32 v76, s0, 29
	s_and_not1_b32 exec_lo, exec_lo, s104
	s_cbranch_execz .LBB7_258
.LBB7_15:                               ; =>This Loop Header: Depth=1
                                        ;     Child Loop BB7_21 Depth 2
                                        ;     Child Loop BB7_39 Depth 2
	;; [unrolled: 1-line block ×6, first 2 shown]
                                        ;       Child Loop BB7_99 Depth 3
                                        ;     Child Loop BB7_120 Depth 2
                                        ;     Child Loop BB7_124 Depth 2
	;; [unrolled: 1-line block ×7, first 2 shown]
                                        ;       Child Loop BB7_203 Depth 3
                                        ;     Child Loop BB7_240 Depth 2
	v_ashrrev_i32_e32 v63, 31, v62
	s_mov_b32 s0, exec_lo
	s_delay_alu instid0(VALU_DEP_1) | instskip(NEXT) | instid1(VALU_DEP_1)
	v_lshlrev_b64_e32 v[88:89], 2, v[62:63]
	v_add_co_u32 v0, vcc_lo, s96, v88
	s_wait_alu 0xfffd
	s_delay_alu instid0(VALU_DEP_2) | instskip(SKIP_3) | instid1(VALU_DEP_1)
	v_add_co_ci_u32_e64 v1, null, s97, v89, vcc_lo
	global_load_b32 v90, v[0:1], off
	s_wait_loadcnt 0x0
	v_ashrrev_i32_e32 v91, 31, v90
	v_lshlrev_b64_e32 v[0:1], 2, v[90:91]
	s_delay_alu instid0(VALU_DEP_1) | instskip(SKIP_1) | instid1(VALU_DEP_2)
	v_add_co_u32 v2, vcc_lo, s100, v0
	s_wait_alu 0xfffd
	v_add_co_ci_u32_e64 v3, null, s101, v1, vcc_lo
	v_add_co_u32 v0, vcc_lo, s102, v0
	s_wait_alu 0xfffd
	v_add_co_ci_u32_e64 v1, null, s103, v1, vcc_lo
	global_load_b32 v40, v[2:3], off
	global_load_b32 v46, v[0:1], off
	v_mov_b32_e32 v0, 0
	v_cmpx_ne_u32_e32 0, v62
	s_cbranch_execz .LBB7_17
; %bb.16:                               ;   in Loop: Header=BB7_15 Depth=1
	v_readlane_b32 s2, v77, 15
	v_readlane_b32 s3, v77, 16
	s_wait_alu 0xf1ff
	s_delay_alu instid0(VALU_DEP_2) | instskip(SKIP_1) | instid1(VALU_DEP_2)
	v_add_co_u32 v0, vcc_lo, s2, v88
	s_wait_alu 0xfffd
	v_add_co_ci_u32_e64 v1, null, s3, v89, vcc_lo
	global_load_b32 v0, v[0:1], off offset:-4
.LBB7_17:                               ;   in Loop: Header=BB7_15 Depth=1
	s_wait_alu 0xfffe
	s_or_b32 exec_lo, exec_lo, s0
	v_readlane_b32 s0, v77, 15
	v_readlane_b32 s1, v77, 16
	s_and_not1_b32 s86, s86, exec_lo
	s_mov_b32 s2, -1
	s_mov_b32 s3, 0
	v_add_co_u32 v1, vcc_lo, s0, v88
	s_wait_alu 0xfffd
	v_add_co_ci_u32_e64 v2, null, s1, v89, vcc_lo
	s_wait_loadcnt 0x1
	v_cmp_lt_i32_e32 vcc_lo, 5, v40
	s_mov_b32 s0, -1
	s_mov_b32 s1, 0
	global_load_b32 v1, v[1:2], off
	v_add_nc_u32_e32 v2, -5, v40
	s_mov_b32 s4, 0
	s_mov_b32 s5, 0
	;; [unrolled: 1-line block ×4, first 2 shown]
	v_lshlrev_b32_e64 v2, v2, 1
	s_mov_b32 s8, 0
	s_mov_b32 s9, 0
	;; [unrolled: 1-line block ×4, first 2 shown]
	s_wait_alu 0xfffd
	v_cndmask_b32_e32 v57, 1, v2, vcc_lo
	s_mov_b32 s12, 0
	s_mov_b32 s13, 0
	;; [unrolled: 1-line block ×17, first 2 shown]
	s_mov_b32 s30, exec_lo
	s_wait_loadcnt 0x0
	v_sub_nc_u32_e32 v1, v1, v0
	s_delay_alu instid0(VALU_DEP_1)
	v_cmpx_eq_u32_e64 v1, v57
	s_cbranch_execz .LBB7_14
; %bb.18:                               ;   in Loop: Header=BB7_15 Depth=1
	scratch_load_b32 v1, off, off offset:4160
	s_wait_alu 0xfffe
	v_writelane_b32 v76, s30, 2
	s_wait_loadcnt 0x0
	v_cmp_lt_i32_e32 vcc_lo, -1, v1
	s_mov_b32 s29, exec_lo
	s_wait_alu 0xfffe
	v_writelane_b32 v76, s29, 3
	s_and_b32 s29, s29, vcc_lo
	s_wait_alu 0xfffe
	s_mov_b32 exec_lo, s29
	s_cbranch_execz .LBB7_13
; %bb.19:                               ;   in Loop: Header=BB7_15 Depth=1
	v_ashrrev_i32_e32 v1, 31, v0
	v_readlane_b32 s4, v77, 17
	v_readlane_b32 s6, v77, 19
	;; [unrolled: 1-line block ×4, first 2 shown]
	v_lshlrev_b64_e32 v[93:94], 2, v[0:1]
	v_readlane_b32 s3, v77, 2
	v_dual_mov_b32 v4, v40 :: v_dual_mov_b32 v5, 0x1010
	v_mov_b32_e32 v7, 0x1040
	s_getpc_b64 s[0:1]
	s_wait_alu 0xfffe
	s_sext_i32_i16 s1, s1
	s_add_co_u32 s0, s0, _ZN3sop13minatoIsopRecEPKjS1_iPNS_3SopEP7VecsMemIjLi8192EE@rel32@lo+12
	s_wait_alu 0xfffe
	s_add_co_ci_u32 s1, s1, _ZN3sop13minatoIsopRecEPKjS1_iPNS_3SopEP7VecsMemIjLi8192EE@rel32@hi+24
	v_add_co_u32 v41, vcc_lo, s6, v93
	s_wait_alu 0xfffd
	v_add_co_ci_u32_e64 v42, null, s7, v94, vcc_lo
	v_mov_b32_e32 v6, s3
	s_delay_alu instid0(VALU_DEP_3) | instskip(NEXT) | instid1(VALU_DEP_3)
	v_mov_b32_e32 v0, v41
	v_dual_mov_b32 v2, v41 :: v_dual_mov_b32 v3, v42
	v_dual_mov_b32 v1, v42 :: v_dual_mov_b32 v8, s3
	s_mov_b64 s[8:9], s[84:85]
	v_writelane_b32 v76, s42, 30
	scratch_store_b32 off, v61, off offset:4160
	v_readlane_b32 s5, v77, 18
	s_wait_alu 0xf1fe
	s_swappc_b64 s[30:31], s[0:1]
	v_mov_b32_e32 v60, v57
	s_mov_b32 s0, 0
                                        ; implicit-def: $sgpr28
                                        ; implicit-def: $sgpr2
                                        ; implicit-def: $sgpr1
	s_branch .LBB7_21
.LBB7_20:                               ;   in Loop: Header=BB7_21 Depth=2
	s_wait_alu 0xfffe
	s_or_b32 exec_lo, exec_lo, s3
	s_delay_alu instid0(SALU_CYCLE_1)
	s_and_b32 s3, exec_lo, s2
	s_wait_alu 0xfffe
	s_or_b32 s0, s3, s0
	s_and_not1_b32 s3, s28, exec_lo
	s_and_b32 s4, s1, exec_lo
	s_wait_alu 0xfffe
	s_or_b32 s28, s3, s4
	s_and_not1_b32 exec_lo, exec_lo, s0
	s_cbranch_execz .LBB7_23
.LBB7_21:                               ;   Parent Loop BB7_15 Depth=1
                                        ; =>  This Inner Loop Header: Depth=2
	s_or_b32 s1, s1, exec_lo
	s_or_b32 s2, s2, exec_lo
	s_mov_b32 s3, exec_lo
	v_cmpx_lt_i32_e32 0, v60
	s_cbranch_execz .LBB7_20
; %bb.22:                               ;   in Loop: Header=BB7_21 Depth=2
	v_add_nc_u32_e32 v60, -1, v60
	s_wait_alu 0xfffe
	s_and_not1_b32 s2, s2, exec_lo
	s_and_not1_b32 s1, s1, exec_lo
	s_delay_alu instid0(VALU_DEP_1) | instskip(NEXT) | instid1(VALU_DEP_1)
	v_lshlrev_b64_e32 v[2:3], 2, v[60:61]
	v_add_co_u32 v4, vcc_lo, v41, v2
	s_wait_alu 0xfffd
	s_delay_alu instid0(VALU_DEP_2)
	v_add_co_ci_u32_e64 v5, null, v42, v3, vcc_lo
	v_add_co_u32 v2, vcc_lo, v0, v2
	s_wait_alu 0xfffd
	v_add_co_ci_u32_e64 v3, null, v1, v3, vcc_lo
	global_load_b32 v4, v[4:5], off
	flat_load_b32 v2, v[2:3]
	s_wait_loadcnt_dscnt 0x0
	v_cmp_ne_u32_e32 vcc_lo, v4, v2
	s_and_b32 s4, vcc_lo, exec_lo
	s_wait_alu 0xfffe
	s_or_b32 s2, s2, s4
	s_branch .LBB7_20
.LBB7_23:                               ;   in Loop: Header=BB7_15 Depth=1
	s_or_b32 exec_lo, exec_lo, s0
	s_mov_b32 s0, -1
	s_mov_b32 s1, 0
	s_mov_b32 s2, 0
	;; [unrolled: 1-line block ×27, first 2 shown]
	s_wait_alu 0xfffe
	s_and_saveexec_b32 s29, s28
	v_readlane_b32 s42, v76, 30
	s_wait_alu 0xfffe
	s_xor_b32 s43, exec_lo, s29
	s_cbranch_execz .LBB7_12
; %bb.24:                               ;   in Loop: Header=BB7_15 Depth=1
	scratch_load_b32 v2, off, off offset:4116
	s_mov_b32 s0, 0
	s_mov_b32 s2, exec_lo
	s_wait_loadcnt 0x0
	v_cmpx_lt_i32_e32 0, v2
	s_wait_alu 0xfffe
	s_xor_b32 s2, exec_lo, s2
	s_cbranch_execz .LBB7_28
; %bb.25:                               ;   in Loop: Header=BB7_15 Depth=1
	s_mov_b32 s0, -1
	s_mov_b32 s3, exec_lo
	v_cmpx_eq_u32_e32 1, v2
	s_cbranch_execz .LBB7_27
; %bb.26:                               ;   in Loop: Header=BB7_15 Depth=1
	scratch_load_b64 v[0:1], off, off offset:4120
	s_wait_loadcnt 0x0
	flat_load_b32 v0, v[0:1]
	s_wait_loadcnt_dscnt 0x0
	v_cmp_eq_u32_e32 vcc_lo, 0, v0
	v_cmp_ne_u32_e64 s0, 0, v0
	s_and_b32 s1, vcc_lo, exec_lo
	s_wait_alu 0xfffe
	s_or_not1_b32 s0, s0, exec_lo
.LBB7_27:                               ;   in Loop: Header=BB7_15 Depth=1
	s_wait_alu 0xfffe
	s_or_b32 exec_lo, exec_lo, s3
	s_delay_alu instid0(SALU_CYCLE_1)
	s_and_b32 s1, s1, exec_lo
	s_and_b32 s0, s0, exec_lo
.LBB7_28:                               ;   in Loop: Header=BB7_15 Depth=1
	s_wait_alu 0xfffe
	s_and_not1_saveexec_b32 s2, s2
; %bb.29:                               ;   in Loop: Header=BB7_15 Depth=1
	v_cmp_ne_u32_e32 vcc_lo, 0, v2
	s_and_not1_b32 s0, s0, exec_lo
	s_or_b32 s1, s1, exec_lo
	s_and_b32 s3, vcc_lo, exec_lo
	s_wait_alu 0xfffe
	s_or_b32 s0, s0, s3
; %bb.30:                               ;   in Loop: Header=BB7_15 Depth=1
	s_or_b32 exec_lo, exec_lo, s2
	s_mov_b32 s2, 0
                                        ; implicit-def: $vgpr75 : SGPR spill to VGPR lane
	s_wait_alu 0xfffe
	v_writelane_b32 v75, s2, 2
	v_writelane_b32 v76, s2, 31
	;; [unrolled: 1-line block ×4, first 2 shown]
	s_and_saveexec_b32 s2, s0
	s_cbranch_execz .LBB7_45
; %bb.31:                               ;   in Loop: Header=BB7_15 Depth=1
	v_mov_b32_e32 v3, -1
	s_mov_b32 s6, -1
	s_mov_b32 s0, 0
	s_mov_b32 s3, 0
	s_mov_b32 s4, exec_lo
	v_cmpx_lt_i32_e32 0, v2
	s_cbranch_execz .LBB7_35
; %bb.32:                               ;   in Loop: Header=BB7_15 Depth=1
	scratch_load_b32 v1, off, off offset:4160
	s_mov_b32 s3, exec_lo
	s_wait_loadcnt 0x0
	v_dual_mov_b32 v3, -1 :: v_dual_add_nc_u32 v0, v1, v2
	s_delay_alu instid0(VALU_DEP_1)
	v_cmpx_gt_i32_e32 0x2001, v0
	s_cbranch_execz .LBB7_34
; %bb.33:                               ;   in Loop: Header=BB7_15 Depth=1
	v_lshlrev_b32_e32 v1, 2, v1
	s_mov_b32 s5, exec_lo
	scratch_store_b32 off, v0, off offset:4160
	v_add3_u32 v3, 0x1040, v1, 4
.LBB7_34:                               ;   in Loop: Header=BB7_15 Depth=1
	s_wait_alu 0xfffe
	s_or_b32 exec_lo, exec_lo, s3
	s_delay_alu instid0(SALU_CYCLE_1)
	s_mov_b32 s3, exec_lo
	s_or_not1_b32 s6, s5, exec_lo
.LBB7_35:                               ;   in Loop: Header=BB7_15 Depth=1
	s_wait_alu 0xfffe
	s_or_b32 exec_lo, exec_lo, s4
	s_mov_b32 s5, 0
	s_and_saveexec_b32 s4, s6
	s_cbranch_execz .LBB7_44
; %bb.36:                               ;   in Loop: Header=BB7_15 Depth=1
	s_mov_b32 s6, -1
	s_mov_b32 s5, exec_lo
	v_cmpx_ne_u32_e32 -1, v3
	s_cbranch_execz .LBB7_43
; %bb.37:                               ;   in Loop: Header=BB7_15 Depth=1
	s_mov_b32 s6, exec_lo
	v_cmpx_lt_i32_e32 0, v2
	s_cbranch_execz .LBB7_42
; %bb.38:                               ;   in Loop: Header=BB7_15 Depth=1
	scratch_load_b64 v[0:1], off, off offset:4120
	v_dual_mov_b32 v4, v2 :: v_dual_mov_b32 v5, v3
.LBB7_39:                               ;   Parent Loop BB7_15 Depth=1
                                        ; =>  This Inner Loop Header: Depth=2
	s_wait_loadcnt 0x0
	flat_load_b32 v6, v[0:1]
	v_add_nc_u32_e32 v4, -1, v4
	v_add_co_u32 v0, vcc_lo, v0, 4
	s_wait_alu 0xfffd
	v_add_co_ci_u32_e64 v1, null, 0, v1, vcc_lo
	s_delay_alu instid0(VALU_DEP_3)
	v_cmp_eq_u32_e64 s0, 0, v4
	s_or_b32 s7, s0, s7
	s_wait_loadcnt_dscnt 0x0
	scratch_store_b32 v5, v6, off
	v_add_nc_u32_e32 v5, 4, v5
	s_wait_alu 0xfffe
	s_and_not1_b32 exec_lo, exec_lo, s7
	s_cbranch_execnz .LBB7_39
; %bb.40:                               ;   in Loop: Header=BB7_15 Depth=1
	s_or_b32 exec_lo, exec_lo, s7
	v_mov_b32_e32 v0, v2
	v_readlane_b32 s7, v77, 21
	s_mov_b32 s0, 0
.LBB7_41:                               ;   Parent Loop BB7_15 Depth=1
                                        ; =>  This Inner Loop Header: Depth=2
	scratch_load_b32 v1, v3, off
	v_add_nc_u32_e32 v0, -1, v0
	v_add_nc_u32_e32 v3, 4, v3
	s_delay_alu instid0(VALU_DEP_2)
	v_cmp_eq_u32_e32 vcc_lo, 0, v0
	s_wait_loadcnt 0x0
	scratch_store_b32 off, v1, s7
	s_add_co_i32 s7, s7, 4
	s_wait_alu 0xfffe
	s_or_b32 s0, vcc_lo, s0
	s_wait_alu 0xfffe
	s_and_not1_b32 exec_lo, exec_lo, s0
	s_cbranch_execnz .LBB7_41
.LBB7_42:                               ;   in Loop: Header=BB7_15 Depth=1
	s_wait_alu 0xfffe
	s_or_b32 exec_lo, exec_lo, s6
	scratch_load_b32 v0, off, off offset:4160
	s_mov_b32 s7, exec_lo
	s_xor_b32 s6, exec_lo, -1
	s_wait_loadcnt 0x0
	v_cmp_ge_i32_e32 vcc_lo, v0, v2
	s_and_b32 s0, vcc_lo, exec_lo
.LBB7_43:                               ;   in Loop: Header=BB7_15 Depth=1
	s_wait_alu 0xfffe
	s_or_b32 exec_lo, exec_lo, s5
	s_delay_alu instid0(SALU_CYCLE_1)
	s_and_b32 s7, s7, exec_lo
	s_and_b32 s5, s6, exec_lo
	s_and_not1_b32 s3, s3, exec_lo
	s_and_b32 s0, s0, exec_lo
.LBB7_44:                               ;   in Loop: Header=BB7_15 Depth=1
	s_wait_alu 0xfffe
	s_or_b32 exec_lo, exec_lo, s4
	s_delay_alu instid0(SALU_CYCLE_1)
	s_and_b32 s4, s7, exec_lo
	s_and_b32 s3, s3, exec_lo
	s_wait_alu 0xfffe
	v_writelane_b32 v75, s4, 0
	s_and_b32 s4, s5, exec_lo
	s_and_b32 s18, s0, exec_lo
	s_and_not1_b32 s1, s1, exec_lo
	s_wait_alu 0xfffe
	v_writelane_b32 v75, s4, 1
	v_writelane_b32 v75, s3, 2
.LBB7_45:                               ;   in Loop: Header=BB7_15 Depth=1
	s_wait_alu 0xfffe
	s_or_b32 exec_lo, exec_lo, s2
	s_and_saveexec_b32 s0, s1
	s_cbranch_execz .LBB7_47
; %bb.46:                               ;   in Loop: Header=BB7_15 Depth=1
	scratch_load_b32 v0, off, off offset:4160
	s_mov_b32 s1, exec_lo
	scratch_store_b32 off, v61, off offset:4164
	s_wait_alu 0xfffe
	v_writelane_b32 v76, s1, 31
	v_readlane_b32 s1, v75, 0
	s_and_not1_b32 s1, s1, exec_lo
	s_wait_alu 0xfffe
	v_writelane_b32 v75, s1, 0
	s_delay_alu instid0(VALU_DEP_1) | instskip(SKIP_4) | instid1(VALU_DEP_1)
	v_readlane_b32 s1, v75, 1
	s_and_not1_b32 s1, s1, exec_lo
	s_wait_alu 0xfffe
	v_writelane_b32 v75, s1, 1
	s_and_not1_b32 s1, s18, exec_lo
	v_readlane_b32 s3, v75, 2
	s_and_not1_b32 s3, s3, exec_lo
	s_wait_alu 0xfffe
	v_writelane_b32 v75, s3, 2
	s_wait_loadcnt 0x0
	v_cmp_ge_i32_e32 vcc_lo, v0, v2
	s_and_b32 s2, vcc_lo, exec_lo
	s_wait_alu 0xfffe
	s_or_b32 s18, s1, s2
.LBB7_47:                               ;   in Loop: Header=BB7_15 Depth=1
	s_wait_alu 0xfffe
	s_or_b32 exec_lo, exec_lo, s0
	s_mov_b32 s0, -1
	s_mov_b32 s1, 0
	s_mov_b32 s2, 0
	;; [unrolled: 1-line block ×23, first 2 shown]
	s_and_saveexec_b32 s25, s18
	s_cbranch_execz .LBB7_11
; %bb.48:                               ;   in Loop: Header=BB7_15 Depth=1
	s_mov_b32 s18, -1
	s_wait_alu 0xfffe
	v_writelane_b32 v75, s25, 3
	v_cmp_gt_i32_e32 vcc_lo, 16, v40
	scratch_store_b32 off, v2, off offset:4160
	s_mov_b32 s2, exec_lo
	s_wait_alu 0xfffe
	v_writelane_b32 v75, s2, 4
	s_and_b32 s2, s2, vcc_lo
	s_wait_alu 0xfffe
	s_mov_b32 exec_lo, s2
	s_cbranch_execz .LBB7_10
; %bb.49:                               ;   in Loop: Header=BB7_15 Depth=1
	s_mov_b32 s0, 0
	s_mov_b32 s82, 0
	s_mov_b32 s1, exec_lo
	scratch_store_b32 off, v40, off offset:36936
                                        ; implicit-def: $vgpr6
	v_cmpx_lt_i32_e32 0, v2
	s_wait_alu 0xfffe
	s_xor_b32 s1, exec_lo, s1
	s_cbranch_execz .LBB7_55
; %bb.50:                               ;   in Loop: Header=BB7_15 Depth=1
	s_mov_b32 s0, -1
	s_mov_b32 s2, exec_lo
                                        ; implicit-def: $vgpr6
	v_cmpx_eq_u32_e32 1, v2
	s_cbranch_execz .LBB7_54
; %bb.51:                               ;   in Loop: Header=BB7_15 Depth=1
	scratch_load_b32 v0, off, off offset:4164
                                        ; implicit-def: $vgpr6
	s_wait_loadcnt 0x0
	v_cmp_eq_u32_e64 s0, 0, v0
	v_cmp_ne_u32_e32 vcc_lo, 0, v0
	s_wait_alu 0xfffe
	s_and_saveexec_b32 s4, s0
	s_wait_alu 0xfffe
	s_xor_b32 s0, exec_lo, s4
	s_cbranch_execz .LBB7_53
; %bb.52:                               ;   in Loop: Header=BB7_15 Depth=1
	v_add_nc_u32_e32 v6, 1, v40
	v_lshlrev_b32_e32 v0, 3, v40
	v_mov_b32_e32 v60, v61
	s_mov_b32 s3, exec_lo
	scratch_store_b32 off, v6, off offset:36936
	scratch_store_b64 v0, v[60:61], off offset:36944
.LBB7_53:                               ;   in Loop: Header=BB7_15 Depth=1
	s_wait_alu 0xfffe
	s_or_b32 exec_lo, exec_lo, s0
	s_delay_alu instid0(SALU_CYCLE_1)
	s_and_b32 s3, s3, exec_lo
	s_or_not1_b32 s0, vcc_lo, exec_lo
.LBB7_54:                               ;   in Loop: Header=BB7_15 Depth=1
	s_wait_alu 0xfffe
	s_or_b32 exec_lo, exec_lo, s2
	s_delay_alu instid0(SALU_CYCLE_1)
	s_and_b32 s82, s3, exec_lo
	s_and_b32 s0, s0, exec_lo
.LBB7_55:                               ;   in Loop: Header=BB7_15 Depth=1
	s_wait_alu 0xfffe
	s_and_not1_saveexec_b32 s1, s1
; %bb.56:                               ;   in Loop: Header=BB7_15 Depth=1
	v_cmp_ne_u32_e32 vcc_lo, 0, v2
	s_and_not1_b32 s0, s0, exec_lo
	s_mov_b32 s7, exec_lo
	s_and_b32 s2, vcc_lo, exec_lo
	s_wait_alu 0xfffe
	s_or_b32 s0, s0, s2
; %bb.57:                               ;   in Loop: Header=BB7_15 Depth=1
	s_or_b32 exec_lo, exec_lo, s1
	v_dual_mov_b32 v47, v6 :: v_dual_lshlrev_b32 v0, 4, v90
	s_mov_b32 s1, -1
	s_wait_alu 0xfffe
	v_writelane_b32 v75, s1, 5
	s_delay_alu instid0(VALU_DEP_2) | instskip(SKIP_3) | instid1(VALU_DEP_2)
	v_ashrrev_i32_e32 v1, 31, v0
	s_mov_b32 s1, 0
	s_wait_alu 0xfffe
	v_writelane_b32 v75, s1, 6
	v_lshlrev_b64_e32 v[0:1], 2, v[0:1]
	v_writelane_b32 v75, s1, 7
	s_delay_alu instid0(VALU_DEP_2) | instskip(SKIP_1) | instid1(VALU_DEP_3)
	v_add_co_u32 v91, vcc_lo, s98, v0
	s_wait_alu 0xfffd
	v_add_co_ci_u32_e64 v92, null, s99, v1, vcc_lo
	v_writelane_b32 v75, s1, 8
	s_and_saveexec_b32 s8, s0
	s_cbranch_execz .LBB7_77
; %bb.58:                               ;   in Loop: Header=BB7_15 Depth=1
	v_mov_b32_e32 v0, -1
	s_mov_b32 s2, -1
	s_mov_b32 s6, -1
	s_mov_b32 s0, exec_lo
	scratch_store_b32 off, v61, off offset:4148
	v_cmpx_lt_i32_e32 0, v2
	s_cbranch_execz .LBB7_62
; %bb.59:                               ;   in Loop: Header=BB7_15 Depth=1
	v_mov_b32_e32 v0, -1
	s_mov_b32 s2, 0
	s_mov_b32 s3, exec_lo
	v_cmpx_gt_u32_e32 0x1001, v2
	s_cbranch_execz .LBB7_61
; %bb.60:                               ;   in Loop: Header=BB7_15 Depth=1
	v_lshl_add_u32 v0, v2, 3, 0x1040
	v_lshlrev_b32_e32 v1, 2, v2
	s_mov_b32 s2, exec_lo
	s_delay_alu instid0(VALU_DEP_1) | instskip(SKIP_1) | instid1(VALU_DEP_2)
	v_sub_nc_u32_e32 v0, v0, v1
	v_lshlrev_b32_e32 v1, 1, v2
	v_add_nc_u32_e32 v0, 4, v0
	scratch_store_b32 off, v1, off offset:4160
.LBB7_61:                               ;   in Loop: Header=BB7_15 Depth=1
	s_wait_alu 0xfffe
	s_or_b32 exec_lo, exec_lo, s3
	s_delay_alu instid0(SALU_CYCLE_1)
	s_mov_b32 s9, exec_lo
	s_xor_b32 s6, exec_lo, -1
	s_or_not1_b32 s2, s2, exec_lo
.LBB7_62:                               ;   in Loop: Header=BB7_15 Depth=1
	s_wait_alu 0xfffe
	s_or_b32 exec_lo, exec_lo, s0
	s_mov_b32 s0, s82
	s_mov_b32 s4, 0
                                        ; implicit-def: $vgpr6
                                        ; implicit-def: $vgpr47
	s_and_saveexec_b32 s11, s2
	s_cbranch_execz .LBB7_76
; %bb.63:                               ;   in Loop: Header=BB7_15 Depth=1
	v_readlane_b32 s0, v77, 1
	v_cmp_ne_u32_e32 vcc_lo, -1, v0
	v_readlane_b32 s1, v77, 2
	s_mov_b32 s0, exec_lo
	s_wait_alu 0xfffd
	v_cndmask_b32_e32 v3, 0, v0, vcc_lo
	s_wait_alu 0xf1ff
	v_cndmask_b32_e64 v4, 0, s1, vcc_lo
	scratch_store_b64 off, v[3:4], off offset:4152
	v_cmpx_lt_i32_e32 0, v2
	s_cbranch_execz .LBB7_67
; %bb.64:                               ;   in Loop: Header=BB7_15 Depth=1
	v_mov_b32_e32 v1, v2
	v_readlane_b32 s2, v77, 21
	s_mov_b32 s1, 0
.LBB7_65:                               ;   Parent Loop BB7_15 Depth=1
                                        ; =>  This Inner Loop Header: Depth=2
	scratch_load_b32 v3, off, s2
	v_add_nc_u32_e32 v1, -1, v1
	s_add_co_i32 s2, s2, 4
	s_delay_alu instid0(VALU_DEP_1) | instskip(SKIP_4) | instid1(VALU_DEP_1)
	v_cmp_eq_u32_e32 vcc_lo, 0, v1
	s_wait_alu 0xfffe
	s_or_b32 s1, vcc_lo, s1
	s_wait_loadcnt 0x0
	v_lshrrev_b32_e32 v4, 1, v3
	v_or_b32_e32 v4, v4, v3
	s_delay_alu instid0(VALU_DEP_1) | instskip(NEXT) | instid1(VALU_DEP_1)
	v_and_b32_e32 v4, 0x55555555, v4
	v_lshl_add_u32 v4, v4, 1, v4
	s_delay_alu instid0(VALU_DEP_1)
	v_xor_b32_e32 v3, v4, v3
	scratch_store_b32 v0, v3, off
	v_add_nc_u32_e32 v0, 4, v0
	s_wait_alu 0xfffe
	s_and_not1_b32 exec_lo, exec_lo, s1
	s_cbranch_execnz .LBB7_65
; %bb.66:                               ;   in Loop: Header=BB7_15 Depth=1
	s_or_b32 exec_lo, exec_lo, s1
	scratch_store_b32 off, v2, off offset:4148
.LBB7_67:                               ;   in Loop: Header=BB7_15 Depth=1
	s_wait_alu 0xfffe
	v_writelane_b32 v75, s11, 9
	v_writelane_b32 v75, s6, 8
	;; [unrolled: 1-line block ×6, first 2 shown]
	s_or_b32 exec_lo, exec_lo, s0
	v_readlane_b32 s2, v77, 1
	v_readlane_b32 s3, v77, 2
	v_lshlrev_b32_e32 v2, 1, v40
	v_mov_b32_e32 v0, 0x1030
	v_mov_b32_e32 v3, 0x1040
	s_wait_alu 0xf1ff
	v_dual_mov_b32 v5, 0x9048 :: v_dual_mov_b32 v6, s3
	v_dual_mov_b32 v1, s3 :: v_dual_mov_b32 v4, s3
	v_writelane_b32 v75, s84, 11
	s_getpc_b64 s[0:1]
	s_wait_alu 0xfffe
	s_sext_i32_i16 s1, s1
	s_add_co_u32 s0, s0, _ZN3sop12sopFactorRecEPNS_3SopEiP7VecsMemIjLi8192EEPN8subgUtil4SubgILi256EEE@rel32@lo+12
	s_wait_alu 0xfffe
	s_add_co_ci_u32 s1, s1, _ZN3sop12sopFactorRecEPNS_3SopEiP7VecsMemIjLi8192EEPN8subgUtil4SubgILi256EEE@rel32@hi+24
	s_mov_b64 s[8:9], s[84:85]
	v_writelane_b32 v75, s85, 12
	s_wait_alu 0xfffe
	s_swappc_b64 s[30:31], s[0:1]
	scratch_load_b32 v6, off, off offset:36936
	v_ashrrev_i32_e32 v1, 1, v0
	s_mov_b32 s0, s82
	s_mov_b32 s1, exec_lo
                                        ; implicit-def: $vgpr47
	s_delay_alu instid0(VALU_DEP_1)
	v_cmpx_ge_i32_e64 v1, v40
	s_wait_alu 0xfffe
	s_xor_b32 s1, exec_lo, s1
; %bb.68:                               ;   in Loop: Header=BB7_15 Depth=1
	v_add_nc_u32_e32 v47, 1, v40
	s_or_b32 s0, s82, exec_lo
                                        ; implicit-def: $vgpr1
                                        ; implicit-def: $vgpr0
; %bb.69:                               ;   in Loop: Header=BB7_15 Depth=1
	s_wait_alu 0xfffe
	s_or_saveexec_b32 s1, s1
	v_readlane_b32 s10, v75, 8
	v_readlane_b32 s9, v75, 6
	;; [unrolled: 1-line block ×9, first 2 shown]
	s_mov_b32 s2, 0
	s_mov_b32 s6, s10
	;; [unrolled: 1-line block ×4, first 2 shown]
	s_wait_alu 0xfffe
	s_xor_b32 exec_lo, exec_lo, s1
	s_cbranch_execz .LBB7_75
; %bb.70:                               ;   in Loop: Header=BB7_15 Depth=1
	s_wait_loadcnt 0x0
	v_cmp_eq_u32_e32 vcc_lo, v6, v40
	s_mov_b32 s6, -1
	s_mov_b32 s3, 0
	s_mov_b32 s4, s0
                                        ; implicit-def: $vgpr6
	s_and_saveexec_b32 s2, vcc_lo
	s_cbranch_execz .LBB7_74
; %bb.71:                               ;   in Loop: Header=BB7_15 Depth=1
	v_ashrrev_i32_e32 v2, 31, v1
	s_mov_b32 s4, s0
	s_mov_b32 s3, exec_lo
                                        ; implicit-def: $vgpr6
	s_delay_alu instid0(VALU_DEP_1) | instskip(NEXT) | instid1(VALU_DEP_1)
	v_lshlrev_b64_e32 v[1:2], 2, v[1:2]
	v_add_co_u32 v1, vcc_lo, v91, v1
	s_wait_alu 0xfffd
	s_delay_alu instid0(VALU_DEP_2) | instskip(SKIP_3) | instid1(VALU_DEP_1)
	v_add_co_ci_u32_e64 v2, null, v92, v2, vcc_lo
	global_load_b32 v1, v[1:2], off
	s_wait_loadcnt 0x0
	v_lshlrev_b32_e32 v1, 1, v1
	v_cmpx_lt_i32_e32 -1, v1
	s_wait_alu 0xfffe
	s_xor_b32 s3, exec_lo, s3
	s_cbranch_execz .LBB7_73
; %bb.72:                               ;   in Loop: Header=BB7_15 Depth=1
	v_and_b32_e32 v0, 1, v0
	v_add_nc_u32_e32 v6, 1, v40
	v_lshlrev_b32_e32 v2, 3, v40
	s_or_b32 s4, s0, exec_lo
	s_delay_alu instid0(VALU_DEP_3) | instskip(NEXT) | instid1(VALU_DEP_1)
	v_or_b32_e32 v1, v1, v0
	v_lshl_or_b32 v0, v1, 1, v0
	scratch_store_b32 off, v6, off offset:36936
	scratch_store_b64 v2, v[0:1], off offset:36944
.LBB7_73:                               ;   in Loop: Header=BB7_15 Depth=1
	s_wait_alu 0xfffe
	s_or_b32 exec_lo, exec_lo, s3
	s_delay_alu instid0(SALU_CYCLE_1)
	s_and_not1_b32 s5, s0, exec_lo
	s_and_b32 s4, s4, exec_lo
	s_mov_b32 s3, exec_lo
	s_xor_b32 s6, exec_lo, -1
	s_wait_alu 0xfffe
	s_or_b32 s4, s5, s4
.LBB7_74:                               ;   in Loop: Header=BB7_15 Depth=1
	s_wait_alu 0xfffe
	s_or_b32 exec_lo, exec_lo, s2
	v_mov_b32_e32 v47, v6
	s_and_not1_b32 s0, s0, exec_lo
	s_and_b32 s4, s4, exec_lo
	s_and_b32 s5, s3, exec_lo
	;; [unrolled: 1-line block ×3, first 2 shown]
	s_and_not1_b32 s3, s9, exec_lo
	s_and_not1_b32 s6, s10, exec_lo
	s_wait_alu 0xfffe
	s_or_b32 s0, s0, s4
.LBB7_75:                               ;   in Loop: Header=BB7_15 Depth=1
	s_or_b32 exec_lo, exec_lo, s1
	s_delay_alu instid0(SALU_CYCLE_1)
	s_and_b32 s4, s5, exec_lo
	s_and_not1_b32 s5, s9, exec_lo
	s_and_b32 s3, s3, exec_lo
	s_and_b32 s1, s2, exec_lo
	s_wait_alu 0xfffe
	s_or_b32 s9, s5, s3
	s_and_not1_b32 s2, s10, exec_lo
	s_and_b32 s3, s6, exec_lo
	s_and_not1_b32 s5, s82, exec_lo
	s_and_b32 s0, s0, exec_lo
	s_wait_alu 0xfffe
	s_or_b32 s6, s2, s3
	s_or_b32 s0, s5, s0
.LBB7_76:                               ;   in Loop: Header=BB7_15 Depth=1
	s_wait_alu 0xfffe
	s_or_b32 exec_lo, exec_lo, s11
	s_delay_alu instid0(SALU_CYCLE_1)
	s_and_b32 s2, s4, exec_lo
	s_and_b32 s1, s1, exec_lo
	s_wait_alu 0xfffe
	v_writelane_b32 v75, s2, 8
	s_and_b32 s0, s0, exec_lo
	s_or_not1_b32 s2, s6, exec_lo
	s_and_not1_b32 s7, s7, exec_lo
	v_writelane_b32 v75, s1, 7
	s_and_b32 s1, s9, exec_lo
	s_wait_alu 0xfffe
	v_writelane_b32 v75, s1, 6
	s_and_not1_b32 s1, s82, exec_lo
	s_wait_alu 0xfffe
	s_or_b32 s82, s1, s0
	v_writelane_b32 v75, s2, 5
.LBB7_77:                               ;   in Loop: Header=BB7_15 Depth=1
	s_wait_alu 0xfffe
	s_or_b32 exec_lo, exec_lo, s8
	s_and_saveexec_b32 s0, s7
	s_cbranch_execz .LBB7_79
; %bb.78:                               ;   in Loop: Header=BB7_15 Depth=1
	s_wait_loadcnt 0x0
	v_add_nc_u32_e32 v6, 1, v40
	v_lshlrev_b32_e32 v0, 3, v40
	s_or_b32 s82, s82, exec_lo
	s_delay_alu instid0(VALU_DEP_2)
	v_mov_b32_e32 v47, v6
	scratch_store_b32 off, v6, off offset:36936
	scratch_store_b64 v0, v[72:73], off offset:36944
.LBB7_79:                               ;   in Loop: Header=BB7_15 Depth=1
	s_wait_alu 0xfffe
	s_or_b32 exec_lo, exec_lo, s0
	s_mov_b32 s2, -1
	s_mov_b32 s0, 0
	s_mov_b32 s3, 0
	;; [unrolled: 1-line block ×19, first 2 shown]
	s_mov_b32 s1, exec_lo
	s_wait_alu 0xfffe
	v_writelane_b32 v75, s1, 9
	s_and_b32 s1, s1, s82
	s_wait_alu 0xfffe
	s_mov_b32 exec_lo, s1
	s_cbranch_execz .LBB7_9
; %bb.80:                               ;   in Loop: Header=BB7_15 Depth=1
	s_wait_loadcnt 0x0
	v_cmp_ne_u32_e64 s0, v6, v47
	s_mov_b32 s21, 0
	s_mov_b32 s1, exec_lo
	v_cmpx_eq_u32_e64 v6, v47
	s_cbranch_execz .LBB7_82
; %bb.81:                               ;   in Loop: Header=BB7_15 Depth=1
	v_lshlrev_b32_e32 v0, 3, v40
	s_and_not1_b32 s0, s0, exec_lo
	s_mov_b32 s3, exec_lo
	scratch_load_b64 v[0:1], v0, off offset:36944
	s_wait_loadcnt 0x0
	v_lshrrev_b32_e32 v0, 1, v0
	s_delay_alu instid0(VALU_DEP_1)
	v_cmp_ne_u32_e32 vcc_lo, v0, v1
	s_and_b32 s2, vcc_lo, exec_lo
	s_wait_alu 0xfffe
	s_or_b32 s0, s0, s2
.LBB7_82:                               ;   in Loop: Header=BB7_15 Depth=1
	s_wait_alu 0xfffe
	s_or_b32 exec_lo, exec_lo, s1
	v_readlane_b32 s1, v75, 5
	v_mov_b32_e32 v56, 0
	s_wait_alu 0xf1ff
	s_delay_alu instid0(VALU_DEP_2) | instskip(NEXT) | instid1(VALU_DEP_1)
	v_writelane_b32 v75, s1, 13
	v_readlane_b32 s1, v75, 7
	v_readlane_b32 s19, v75, 6
	s_wait_alu 0xf1ff
	s_delay_alu instid0(VALU_DEP_2) | instskip(NEXT) | instid1(VALU_DEP_1)
	v_writelane_b32 v75, s1, 14
	v_readlane_b32 s1, v75, 8
	s_wait_alu 0xf1ff
	s_delay_alu instid0(VALU_DEP_1)
	v_writelane_b32 v75, s1, 15
	s_and_saveexec_b32 s4, s0
	s_cbranch_execz .LBB7_117
; %bb.83:                               ;   in Loop: Header=BB7_15 Depth=1
	v_cmp_lt_i32_e32 vcc_lo, 0, v40
	s_and_saveexec_b32 s0, vcc_lo
	v_readlane_b32 s8, v77, 7
	v_readlane_b32 s9, v77, 8
	v_readlane_b32 s10, v77, 9
	v_readlane_b32 s11, v77, 10
	v_readlane_b32 s12, v77, 11
	v_readlane_b32 s13, v77, 12
	v_readlane_b32 s14, v77, 13
	v_readlane_b32 s15, v77, 14
	s_cbranch_execz .LBB7_86
; %bb.84:                               ;   in Loop: Header=BB7_15 Depth=1
	v_dual_mov_b32 v0, v91 :: v_dual_mov_b32 v1, v92
	v_mov_b32_e32 v2, v40
	s_movk_i32 s1, 0xc10
	s_movk_i32 s2, 0x810
.LBB7_85:                               ;   Parent Loop BB7_15 Depth=1
                                        ; =>  This Inner Loop Header: Depth=2
	global_load_b32 v3, v[0:1], off
	v_add_nc_u32_e32 v2, -1, v2
	s_wait_loadcnt 0x0
	v_ashrrev_i32_e32 v4, 31, v3
	scratch_store_b32 off, v3, s2
	s_wait_alu 0xfffe
	s_add_co_i32 s2, s2, 4
	v_lshlrev_b64_e32 v[4:5], 2, v[3:4]
	s_delay_alu instid0(VALU_DEP_1) | instskip(SKIP_1) | instid1(VALU_DEP_2)
	v_add_co_u32 v4, vcc_lo, s8, v4
	s_wait_alu 0xfffd
	v_add_co_ci_u32_e64 v5, null, s9, v5, vcc_lo
	v_add_co_u32 v0, vcc_lo, v0, 4
	s_wait_alu 0xfffd
	v_add_co_ci_u32_e64 v1, null, 0, v1, vcc_lo
	global_load_b32 v4, v[4:5], off
	v_cmp_eq_u32_e32 vcc_lo, 0, v2
	s_wait_loadcnt 0x0
	scratch_store_b32 off, v4, s1
	s_add_co_i32 s1, s1, 4
	s_or_b32 s5, vcc_lo, s5
	s_wait_alu 0xfffe
	s_and_not1_b32 exec_lo, exec_lo, s5
	s_cbranch_execnz .LBB7_85
.LBB7_86:                               ;   in Loop: Header=BB7_15 Depth=1
	s_wait_alu 0xfffe
	s_or_b32 exec_lo, exec_lo, s0
	v_mov_b32_e32 v0, 0
	v_readlane_b32 s1, v75, 5
	v_readlane_b32 s2, v75, 6
	;; [unrolled: 1-line block ×4, first 2 shown]
	s_mov_b32 s10, -1
	s_mov_b32 s0, 0
	s_mov_b32 s7, 0
	;; [unrolled: 1-line block ×3, first 2 shown]
	s_mov_b32 s5, exec_lo
	v_cmpx_lt_i32_e64 v40, v6
	s_cbranch_execz .LBB7_114
; %bb.87:                               ;   in Loop: Header=BB7_15 Depth=1
	v_dual_mov_b32 v7, 0 :: v_dual_mov_b32 v8, v40
	s_mov_b32 s10, 0
                                        ; implicit-def: $sgpr9
                                        ; implicit-def: $sgpr8
                                        ; implicit-def: $sgpr6
                                        ; implicit-def: $sgpr7
                                        ; implicit-def: $sgpr13
                                        ; implicit-def: $sgpr11
                                        ; implicit-def: $sgpr12
                                        ; implicit-def: $sgpr14
                                        ; implicit-def: $sgpr15
	s_branch .LBB7_93
.LBB7_88:                               ;   in Loop: Header=BB7_93 Depth=2
	s_wait_alu 0xfffe
	s_or_b32 exec_lo, exec_lo, s23
	s_delay_alu instid0(SALU_CYCLE_1)
	s_and_not1_b32 s18, s18, exec_lo
	s_and_b32 s22, s22, exec_lo
	s_and_not1_b32 s19, s19, exec_lo
	s_wait_alu 0xfffe
	s_or_b32 s18, s18, s22
	s_or_not1_b32 s22, s21, exec_lo
.LBB7_89:                               ;   in Loop: Header=BB7_93 Depth=2
	s_wait_alu 0xfffe
	s_or_b32 exec_lo, exec_lo, s20
	s_delay_alu instid0(SALU_CYCLE_1)
	s_and_not1_b32 s1, s1, exec_lo
	s_and_b32 s18, s18, exec_lo
	s_and_not1_b32 s0, s0, exec_lo
	s_and_b32 s19, s19, exec_lo
	s_wait_alu 0xfffe
	s_or_b32 s1, s1, s18
	s_or_b32 s0, s0, s19
	s_or_not1_b32 s18, s22, exec_lo
.LBB7_90:                               ;   in Loop: Header=BB7_93 Depth=2
	s_wait_alu 0xfffe
	s_or_b32 exec_lo, exec_lo, s2
	s_delay_alu instid0(SALU_CYCLE_1)
	s_and_b32 s1, s1, exec_lo
	s_or_not1_b32 s2, s0, exec_lo
	s_or_not1_b32 s0, s18, exec_lo
.LBB7_91:                               ;   in Loop: Header=BB7_93 Depth=2
	s_wait_alu 0xfffe
	s_or_b32 exec_lo, exec_lo, s17
	s_delay_alu instid0(SALU_CYCLE_1)
	s_and_not1_b32 s15, s15, exec_lo
	s_and_b32 s1, s1, exec_lo
	s_and_not1_b32 s14, s14, exec_lo
	s_and_b32 s2, s2, exec_lo
	s_wait_alu 0xfffe
	s_or_b32 s15, s15, s1
	s_and_not1_b32 s1, s13, exec_lo
	s_and_b32 s0, s0, exec_lo
	s_or_b32 s14, s14, s2
	s_and_not1_b32 s12, s12, exec_lo
	s_or_b32 s11, s11, exec_lo
	s_wait_alu 0xfffe
	s_or_b32 s13, s1, s0
.LBB7_92:                               ;   in Loop: Header=BB7_93 Depth=2
	s_wait_alu 0xfffe
	s_or_b32 exec_lo, exec_lo, s16
	s_xor_b32 s0, s15, -1
	s_xor_b32 s1, s14, -1
	s_and_b32 s2, exec_lo, s13
	s_wait_alu 0xfffe
	s_or_b32 s10, s2, s10
	s_and_not1_b32 s2, s7, exec_lo
	s_and_b32 s7, s12, exec_lo
	s_and_not1_b32 s6, s6, exec_lo
	s_and_b32 s16, s11, exec_lo
	s_wait_alu 0xfffe
	s_or_b32 s7, s2, s7
	s_and_not1_b32 s2, s8, exec_lo
	s_and_b32 s0, s0, exec_lo
	s_and_not1_b32 s9, s9, exec_lo
	s_and_b32 s1, s1, exec_lo
	s_or_b32 s6, s6, s16
	s_wait_alu 0xfffe
	s_or_b32 s8, s2, s0
	s_or_b32 s9, s9, s1
	s_and_not1_b32 exec_lo, exec_lo, s10
	s_cbranch_execz .LBB7_111
.LBB7_93:                               ;   Parent Loop BB7_15 Depth=1
                                        ; =>  This Loop Header: Depth=2
                                        ;       Child Loop BB7_99 Depth 3
	s_delay_alu instid0(VALU_DEP_1)
	v_lshlrev_b32_e32 v0, 3, v8
	s_and_not1_b32 s15, s15, exec_lo
	s_or_b32 s14, s14, exec_lo
	s_or_b32 s12, s12, exec_lo
	s_and_not1_b32 s11, s11, exec_lo
	scratch_load_b64 v[0:1], v0, off offset:36944
	s_or_b32 s13, s13, exec_lo
	s_mov_b32 s16, exec_lo
	s_wait_loadcnt 0x0
	v_lshrrev_b32_e32 v2, 1, v0
	s_delay_alu instid0(VALU_DEP_1)
	v_cmpx_gt_i32_e64 v2, v1
	s_cbranch_execz .LBB7_92
; %bb.94:                               ;   in Loop: Header=BB7_93 Depth=2
	v_ashrrev_i32_e32 v3, 1, v1
	v_lshrrev_b32_e32 v2, 2, v0
	s_mov_b32 s0, -1
	s_mov_b32 s1, 0
	s_mov_b32 s2, -1
	s_mov_b32 s17, exec_lo
	v_max_i32_e32 v4, v2, v3
	s_delay_alu instid0(VALU_DEP_1)
	v_cmpx_lt_i32_e64 v4, v8
	s_cbranch_execz .LBB7_91
; %bb.95:                               ;   in Loop: Header=BB7_93 Depth=2
	v_dual_mov_b32 v4, -1 :: v_dual_lshlrev_b32 v9, 2, v3
	v_lshlrev_b32_e32 v10, 2, v2
	s_mov_b32 s18, -1
	s_mov_b32 s20, -1
	s_clause 0x1
	scratch_load_b32 v2, v9, off offset:2064
	scratch_load_b32 v3, v10, off offset:2064
	s_wait_loadcnt 0x1
	v_cmp_ne_u32_e32 vcc_lo, -1, v2
	s_wait_loadcnt 0x0
	v_cmp_ne_u32_e64 s0, -1, v3
	s_wait_alu 0xfffe
	s_and_b32 s2, vcc_lo, s0
	s_mov_b32 s0, -1
	s_wait_alu 0xfffe
	s_and_saveexec_b32 s19, s2
	s_cbranch_execz .LBB7_105
; %bb.96:                               ;   in Loop: Header=BB7_93 Depth=2
	v_readlane_b32 s26, v77, 30
	v_readlane_b32 s27, v77, 31
	v_and_b32_e32 v1, 1, v1
	v_bfe_u32 v0, v0, 1, 1
	v_readlane_b32 s30, v76, 0
	s_cvt_f32_u32 s0, s26
	s_cvt_f32_u32 s1, s27
	v_lshl_or_b32 v2, v2, 1, v1
	v_lshl_or_b32 v0, v3, 1, v0
	v_readlane_b32 s31, v76, 1
	s_wait_alu 0xfffe
	s_fmamk_f32 s0, s1, 0x4f800000, s0
	v_readlane_b32 s24, v77, 24
	v_readlane_b32 s25, v77, 25
	v_min_i32_e32 v1, v2, v0
	s_wait_alu 0xfffe
	v_s_rcp_f32 s0, s0
	v_max_i32_e32 v0, v2, v0
	s_mov_b32 s29, s25
	v_lshrrev_b32_e32 v2, 1, v1
	v_mul_lo_u32 v4, 0xed558ccd, v1
	s_delay_alu instid0(TRANS32_DEP_1) | instskip(NEXT) | instid1(VALU_DEP_2)
	s_mul_f32 s0, s0, 0x5f7ffffc
	v_xor_b32_e32 v2, v0, v2
	s_wait_alu 0xfffe
	s_delay_alu instid0(SALU_CYCLE_1) | instskip(NEXT) | instid1(VALU_DEP_1)
	s_mul_f32 s1, s0, 0x2f800000
	v_mul_lo_u32 v5, 0xff51afd7, v2
	s_wait_alu 0xfffe
	s_delay_alu instid0(SALU_CYCLE_1) | instskip(SKIP_2) | instid1(SALU_CYCLE_1)
	s_trunc_f32 s1, s1
	v_mad_co_u64_u32 v[2:3], null, 0xed558ccd, v2, 0
	s_wait_alu 0xfffe
	s_fmamk_f32 s0, s1, 0xcf800000, s0
	s_cvt_u32_f32 s1, s1
	s_wait_alu 0xfffe
	s_delay_alu instid0(SALU_CYCLE_1) | instskip(NEXT) | instid1(VALU_DEP_1)
	s_cvt_u32_f32 s0, s0
	v_add3_u32 v3, v3, v5, v4
	s_wait_alu 0xfffe
	s_delay_alu instid0(SALU_CYCLE_1) | instskip(NEXT) | instid1(VALU_DEP_1)
	s_mul_u64 s[20:21], s[30:31], s[0:1]
	v_lshrrev_b32_e32 v4, 1, v3
	s_wait_alu 0xfffe
	s_mul_hi_u32 s23, s0, s21
	s_mul_i32 s22, s0, s21
	s_mul_hi_u32 s28, s0, s20
	s_mul_i32 s24, s1, s20
	s_wait_alu 0xfffe
	s_add_nc_u64 s[22:23], s[28:29], s[22:23]
	s_mul_hi_u32 s2, s1, s20
	s_mul_hi_u32 s25, s1, s21
	s_mul_i32 s20, s1, s21
	s_wait_alu 0xfffe
	s_add_co_u32 s21, s22, s24
	s_add_co_ci_u32 s28, s23, s2
	s_add_co_ci_u32 s21, s25, 0
	v_xor_b32_e32 v2, v4, v2
	s_wait_alu 0xfffe
	s_add_nc_u64 s[20:21], s[28:29], s[20:21]
	v_mul_lo_u32 v4, 0x1a85ec53, v3
	s_wait_alu 0xfffe
	s_add_co_u32 s0, s0, s20
	s_cselect_b32 s2, -1, 0
	v_mul_lo_u32 v5, 0xc4ceb9fe, v2
	v_mad_co_u64_u32 v[2:3], null, 0x1a85ec53, v2, 0
	s_wait_alu 0xfffe
	s_cmp_lg_u32 s2, 0
	s_add_co_ci_u32 s1, s1, s21
	s_wait_alu 0xfffe
	s_mul_u64 s[20:21], s[30:31], s[0:1]
	s_wait_alu 0xfffe
	s_mul_hi_u32 s23, s0, s21
	s_mul_i32 s22, s0, s21
	s_mul_hi_u32 s28, s0, s20
	v_add3_u32 v13, v3, v5, v4
	s_mul_i32 s24, s1, s20
	s_wait_alu 0xfffe
	s_add_nc_u64 s[22:23], s[28:29], s[22:23]
	s_mul_hi_u32 s2, s1, s20
	s_mul_hi_u32 s25, s1, s21
	s_mul_i32 s20, s1, s21
	s_wait_alu 0xfffe
	s_add_co_u32 s21, s22, s24
	s_add_co_ci_u32 s28, s23, s2
	s_add_co_ci_u32 s21, s25, 0
	v_lshrrev_b32_e32 v3, 1, v13
	s_wait_alu 0xfffe
	s_add_nc_u64 s[20:21], s[28:29], s[20:21]
	s_mov_b32 s23, s29
	s_wait_alu 0xfffe
	s_add_co_u32 s0, s0, s20
	s_cselect_b32 s2, -1, 0
	v_xor_b32_e32 v14, v3, v2
	s_wait_alu 0xfffe
	s_cmp_lg_u32 s2, 0
	v_mad_co_u64_u32 v[4:5], null, v13, s0, 0
	s_add_co_ci_u32 s1, s1, s21
	v_mul_hi_u32 v15, v14, s0
	s_wait_alu 0xfffe
	v_mad_co_u64_u32 v[2:3], null, v14, s1, 0
	v_mad_co_u64_u32 v[11:12], null, v13, s1, 0
	v_writelane_b32 v77, s22, 24
	s_delay_alu instid0(VALU_DEP_3) | instskip(SKIP_1) | instid1(VALU_DEP_4)
	v_add_co_u32 v2, vcc_lo, v15, v2
	s_wait_alu 0xfffd
	v_add_co_ci_u32_e64 v3, null, 0, v3, vcc_lo
	v_writelane_b32 v77, s23, 25
	s_delay_alu instid0(VALU_DEP_3) | instskip(SKIP_1) | instid1(VALU_DEP_3)
	v_add_co_u32 v2, vcc_lo, v2, v4
	s_wait_alu 0xfffd
	v_add_co_ci_u32_e32 v2, vcc_lo, v3, v5, vcc_lo
	s_wait_alu 0xfffd
	v_add_co_ci_u32_e32 v3, vcc_lo, 0, v12, vcc_lo
	v_readlane_b32 s20, v77, 3
	s_delay_alu instid0(VALU_DEP_3) | instskip(SKIP_1) | instid1(VALU_DEP_3)
	v_add_co_u32 v2, vcc_lo, v2, v11
	s_wait_alu 0xfffd
	v_add_co_ci_u32_e64 v4, null, 0, v3, vcc_lo
	v_readlane_b32 s21, v77, 4
	s_delay_alu instid0(VALU_DEP_3) | instskip(SKIP_1) | instid1(VALU_DEP_4)
	v_mul_lo_u32 v5, s27, v2
	v_mad_co_u64_u32 v[2:3], null, s26, v2, 0
	v_mul_lo_u32 v4, s26, v4
	v_readlane_b32 s22, v77, 5
	v_readlane_b32 s23, v77, 6
	s_delay_alu instid0(VALU_DEP_4) | instskip(NEXT) | instid1(VALU_DEP_4)
	v_sub_co_u32 v2, vcc_lo, v14, v2
	v_add3_u32 v3, v3, v4, v5
	s_delay_alu instid0(VALU_DEP_2) | instskip(NEXT) | instid1(VALU_DEP_2)
	v_sub_co_u32 v5, s0, v2, s26
	v_sub_nc_u32_e32 v4, v13, v3
	v_cmp_le_u32_e64 s1, s26, v2
	s_wait_alu 0xfffd
	v_sub_co_ci_u32_e64 v3, null, v13, v3, vcc_lo
	s_delay_alu instid0(VALU_DEP_3)
	v_subrev_co_ci_u32_e64 v4, null, s27, v4, vcc_lo
	v_cmp_le_u32_e32 vcc_lo, s26, v5
	s_wait_alu 0xf1ff
	v_cndmask_b32_e64 v12, 0, -1, s1
	v_cmp_le_u32_e64 s1, s27, v3
	v_subrev_co_ci_u32_e64 v11, null, 0, v4, s0
	s_wait_alu 0xfffd
	v_cndmask_b32_e64 v13, 0, -1, vcc_lo
	v_subrev_co_ci_u32_e64 v4, null, s27, v4, s0
	s_delay_alu instid0(VALU_DEP_3)
	v_cmp_le_u32_e64 s2, s27, v11
	v_cmp_eq_u32_e32 vcc_lo, s27, v11
	s_wait_alu 0xf1ff
	v_cndmask_b32_e64 v15, 0, -1, s1
	s_mov_b32 s1, -1
	v_cndmask_b32_e64 v14, 0, -1, s2
	v_cmp_eq_u32_e64 s2, s27, v3
	s_wait_alu 0xfffd
	s_delay_alu instid0(VALU_DEP_2)
	v_cndmask_b32_e32 v13, v14, v13, vcc_lo
	v_sub_co_u32 v14, vcc_lo, v5, s26
	s_wait_alu 0xfffd
	v_subrev_co_ci_u32_e64 v4, null, 0, v4, vcc_lo
	s_wait_alu 0xf1ff
	v_cndmask_b32_e64 v12, v15, v12, s2
	v_cmp_ne_u32_e32 vcc_lo, 0, v13
	s_delay_alu instid0(VALU_DEP_2) | instskip(SKIP_3) | instid1(VALU_DEP_1)
	v_cmp_ne_u32_e64 s0, 0, v12
	s_wait_alu 0xfffd
	v_dual_cndmask_b32 v4, v11, v4 :: v_dual_cndmask_b32 v5, v5, v14
	s_wait_alu 0xf1ff
	v_cndmask_b32_e64 v3, v3, v4, s0
	s_delay_alu instid0(VALU_DEP_2) | instskip(SKIP_1) | instid1(VALU_DEP_1)
	v_cndmask_b32_e64 v2, v2, v5, s0
	s_mov_b32 s0, exec_lo
	v_lshlrev_b64_e32 v[4:5], 3, v[2:3]
	s_delay_alu instid0(VALU_DEP_1) | instskip(SKIP_1) | instid1(VALU_DEP_2)
	v_add_co_u32 v4, vcc_lo, s20, v4
	s_wait_alu 0xfffd
	v_add_co_ci_u32_e64 v5, null, s21, v5, vcc_lo
	global_load_b64 v[4:5], v[4:5], off
	s_wait_loadcnt 0x0
	v_cmpx_ne_u64_e64 v[4:5], v[0:1]
	s_cbranch_execz .LBB7_102
; %bb.97:                               ;   in Loop: Header=BB7_93 Depth=2
	s_mov_b32 s1, 0
                                        ; implicit-def: $sgpr2
                                        ; implicit-def: $sgpr21
                                        ; implicit-def: $sgpr20
	s_branch .LBB7_99
.LBB7_98:                               ;   in Loop: Header=BB7_99 Depth=3
	s_wait_alu 0xfffe
	s_or_b32 exec_lo, exec_lo, s22
	s_xor_b32 s22, s20, -1
	s_and_b32 s23, exec_lo, s21
	s_wait_alu 0xfffe
	s_or_b32 s1, s23, s1
	s_and_not1_b32 s2, s2, exec_lo
	s_and_b32 s22, s22, exec_lo
	s_wait_alu 0xfffe
	s_or_b32 s2, s2, s22
	s_and_not1_b32 exec_lo, exec_lo, s1
	s_cbranch_execz .LBB7_101
.LBB7_99:                               ;   Parent Loop BB7_15 Depth=1
                                        ;     Parent Loop BB7_93 Depth=2
                                        ; =>    This Inner Loop Header: Depth=3
	v_cmp_ne_u64_e32 vcc_lo, -1, v[4:5]
	s_or_b32 s20, s20, exec_lo
	s_or_b32 s21, s21, exec_lo
                                        ; implicit-def: $vgpr4_vgpr5
	s_and_saveexec_b32 s22, vcc_lo
	s_cbranch_execz .LBB7_98
; %bb.100:                              ;   in Loop: Header=BB7_99 Depth=3
	v_add_co_u32 v2, vcc_lo, v2, 1
	v_readlane_b32 s24, v77, 30
	s_wait_alu 0xfffd
	v_add_co_ci_u32_e64 v3, null, 0, v3, vcc_lo
	v_readlane_b32 s25, v77, 31
	s_wait_alu 0xfffe
	s_and_not1_b32 s21, s21, exec_lo
	s_and_not1_b32 s20, s20, exec_lo
	v_cmp_ne_u64_e32 vcc_lo, s[24:25], v[2:3]
	v_readlane_b32 s24, v77, 3
	v_readlane_b32 s25, v77, 4
	;; [unrolled: 1-line block ×4, first 2 shown]
	s_wait_alu 0xfffd
	v_dual_cndmask_b32 v3, 0, v3 :: v_dual_cndmask_b32 v2, 0, v2
	s_delay_alu instid0(VALU_DEP_1) | instskip(SKIP_1) | instid1(VALU_DEP_1)
	v_lshlrev_b64_e32 v[4:5], 3, v[2:3]
	s_wait_alu 0xf1ff
	v_add_co_u32 v4, vcc_lo, s24, v4
	s_wait_alu 0xfffd
	s_delay_alu instid0(VALU_DEP_2)
	v_add_co_ci_u32_e64 v5, null, s25, v5, vcc_lo
	global_load_b64 v[4:5], v[4:5], off
	s_wait_loadcnt 0x0
	v_cmp_eq_u64_e32 vcc_lo, v[4:5], v[0:1]
	s_and_b32 s23, vcc_lo, exec_lo
	s_wait_alu 0xfffe
	s_or_b32 s21, s21, s23
	s_branch .LBB7_98
.LBB7_101:                              ;   in Loop: Header=BB7_93 Depth=2
	s_or_b32 exec_lo, exec_lo, s1
	s_wait_alu 0xfffe
	s_or_not1_b32 s1, s2, exec_lo
.LBB7_102:                              ;   in Loop: Header=BB7_93 Depth=2
	s_wait_alu 0xfffe
	s_or_b32 exec_lo, exec_lo, s0
	v_mov_b32_e32 v4, -1
	s_and_saveexec_b32 s0, s1
	s_cbranch_execz .LBB7_104
; %bb.103:                              ;   in Loop: Header=BB7_93 Depth=2
	v_lshlrev_b64_e32 v[0:1], 2, v[2:3]
	v_readlane_b32 s20, v77, 3
	v_readlane_b32 s22, v77, 5
	v_readlane_b32 s23, v77, 6
	v_readlane_b32 s21, v77, 4
	s_wait_alu 0xf1ff
	s_delay_alu instid0(VALU_DEP_3)
	v_add_co_u32 v0, vcc_lo, s22, v0
	s_wait_alu 0xfffd
	v_add_co_ci_u32_e64 v1, null, s23, v1, vcc_lo
	global_load_b32 v4, v[0:1], off
.LBB7_104:                              ;   in Loop: Header=BB7_93 Depth=2
	s_wait_alu 0xfffe
	s_or_b32 exec_lo, exec_lo, s0
	s_wait_loadcnt 0x0
	v_cmp_ne_u32_e32 vcc_lo, v4, v90
	s_mov_b32 s1, exec_lo
	s_xor_b32 s0, exec_lo, -1
	s_or_not1_b32 s20, vcc_lo, exec_lo
.LBB7_105:                              ;   in Loop: Header=BB7_93 Depth=2
	s_wait_alu 0xfffe
	s_or_b32 exec_lo, exec_lo, s19
	s_and_saveexec_b32 s2, s20
	s_cbranch_execz .LBB7_90
; %bb.106:                              ;   in Loop: Header=BB7_93 Depth=2
	v_cmp_ne_u32_e64 s21, -1, v4
	s_mov_b32 s19, s0
	s_mov_b32 s18, s1
	s_mov_b32 s20, exec_lo
	v_cmpx_eq_u32_e32 -1, v4
; %bb.107:                              ;   in Loop: Header=BB7_93 Depth=2
	v_add_nc_u32_e32 v0, 1, v7
	v_cmp_lt_i32_e32 vcc_lo, v7, v46
	s_and_not1_b32 s21, s21, exec_lo
	s_or_b32 s18, s1, exec_lo
	s_and_not1_b32 s19, s0, exec_lo
	v_mov_b32_e32 v7, v0
	s_and_b32 s22, vcc_lo, exec_lo
	s_wait_alu 0xfffe
	s_or_b32 s21, s21, s22
; %bb.108:                              ;   in Loop: Header=BB7_93 Depth=2
	s_or_b32 exec_lo, exec_lo, s20
	s_mov_b32 s22, -1
	s_wait_alu 0xfffe
	s_and_saveexec_b32 s20, s21
	s_cbranch_execz .LBB7_89
; %bb.109:                              ;   in Loop: Header=BB7_93 Depth=2
	s_clause 0x1
	scratch_load_b32 v0, v9, off offset:3088
	scratch_load_b32 v1, v10, off offset:3088
	s_mov_b32 s21, -1
	s_mov_b32 s23, exec_lo
	s_wait_loadcnt 0x0
	v_max_i32_e32 v1, v0, v1
	v_lshlrev_b32_e32 v0, 2, v8
	s_delay_alu instid0(VALU_DEP_2)
	v_add_nc_u32_e32 v2, 1, v1
	scratch_store_b32 v0, v2, off offset:3088
	v_cmpx_gt_i32_e32 0x3b9aca00, v1
	s_cbranch_execz .LBB7_88
; %bb.110:                              ;   in Loop: Header=BB7_93 Depth=2
	v_add_nc_u32_e32 v8, 1, v8
	s_xor_b32 s22, exec_lo, -1
	scratch_store_b32 v0, v4, off offset:2064
	v_cmp_ge_i32_e32 vcc_lo, v8, v6
	s_or_not1_b32 s21, vcc_lo, exec_lo
	s_branch .LBB7_88
.LBB7_111:                              ;   in Loop: Header=BB7_15 Depth=1
	s_or_b32 exec_lo, exec_lo, s10
	v_mov_b32_e32 v0, 0
	s_mov_b32 s10, 0
	s_mov_b32 s0, 0
	s_wait_alu 0xfffe
	s_and_saveexec_b32 s1, s9
	s_wait_alu 0xfffe
	s_xor_b32 s1, exec_lo, s1
; %bb.112:                              ;   in Loop: Header=BB7_15 Depth=1
	v_mov_b32_e32 v0, v7
	s_mov_b32 s0, exec_lo
	s_and_b32 s10, s8, exec_lo
; %bb.113:                              ;   in Loop: Header=BB7_15 Depth=1
	s_wait_alu 0xfffe
	s_or_b32 exec_lo, exec_lo, s1
	v_readlane_b32 s1, v75, 8
	s_and_b32 s9, s6, exec_lo
	s_and_b32 s7, s7, exec_lo
	;; [unrolled: 1-line block ×3, first 2 shown]
	s_or_not1_b32 s10, s10, exec_lo
	s_and_not1_b32 s8, s1, exec_lo
	v_readlane_b32 s1, v75, 7
	s_and_not1_b32 s6, s1, exec_lo
	v_readlane_b32 s1, v75, 6
	;; [unrolled: 2-line block ×3, first 2 shown]
	s_and_not1_b32 s1, s1, exec_lo
.LBB7_114:                              ;   in Loop: Header=BB7_15 Depth=1
	s_wait_alu 0xfffe
	s_or_b32 exec_lo, exec_lo, s5
	v_mov_b32_e32 v56, -1
	s_and_saveexec_b32 s5, s10
	s_cbranch_execz .LBB7_116
; %bb.115:                              ;   in Loop: Header=BB7_15 Depth=1
	v_dual_mov_b32 v56, v0 :: v_dual_lshlrev_b32 v1, 2, v6
	s_or_b32 s0, s0, exec_lo
	scratch_load_b32 v45, v1, off offset:3084
.LBB7_116:                              ;   in Loop: Header=BB7_15 Depth=1
	s_wait_alu 0xfffe
	s_or_b32 exec_lo, exec_lo, s5
	v_readlane_b32 s5, v75, 8
	s_and_b32 s8, s8, exec_lo
	s_and_b32 s6, s6, exec_lo
	s_and_b32 s21, s7, exec_lo
	s_and_b32 s2, s2, exec_lo
	s_and_not1_b32 s5, s5, exec_lo
	s_and_b32 s1, s1, exec_lo
	s_wait_alu 0xfffe
	s_or_b32 s5, s5, s8
	s_and_not1_b32 s3, s3, exec_lo
	s_wait_alu 0xfffe
	v_writelane_b32 v75, s5, 15
	s_and_b32 s0, s0, exec_lo
	s_and_b32 s20, s9, exec_lo
	s_wait_alu 0xfffe
	s_or_b32 s3, s3, s0
	v_readlane_b32 s5, v75, 7
	v_readlane_b32 s7, v75, 6
	s_and_not1_b32 s5, s5, exec_lo
	s_and_not1_b32 s7, s7, exec_lo
	s_wait_alu 0xfffe
	s_or_b32 s5, s5, s6
	s_or_b32 s19, s7, s2
	s_wait_alu 0xfffe
	v_writelane_b32 v75, s5, 14
	s_delay_alu instid0(VALU_DEP_1)
	v_readlane_b32 s2, v75, 5
	s_and_not1_b32 s2, s2, exec_lo
	s_wait_alu 0xfffe
	s_or_b32 s1, s2, s1
	s_wait_alu 0xfffe
	v_writelane_b32 v75, s1, 13
.LBB7_117:                              ;   in Loop: Header=BB7_15 Depth=1
	s_wait_alu 0xfffe
	s_or_b32 exec_lo, exec_lo, s4
	s_mov_b32 s1, -1
	s_mov_b32 s0, 0
	s_mov_b32 s2, 0
	s_mov_b32 s4, 0
	s_mov_b32 s5, 0
	s_mov_b32 s6, 0
	s_mov_b32 s7, 0
	s_mov_b32 s8, 0
	s_mov_b32 s9, 0
	s_mov_b32 s10, 0
	s_mov_b32 s11, 0
	s_mov_b32 s12, 0
	s_mov_b32 s13, 0
	s_mov_b32 s14, 0
	s_mov_b32 s15, 0
	s_mov_b32 s16, 0
	s_mov_b32 s17, 0
	s_mov_b32 s18, 0
	s_mov_b32 s22, exec_lo
	s_wait_alu 0xfffe
	s_and_b32 s3, s22, s3
	v_writelane_b32 v75, s22, 16
	s_wait_alu 0xfffe
	s_mov_b32 exec_lo, s3
	s_cbranch_execz .LBB7_8
; %bb.118:                              ;   in Loop: Header=BB7_15 Depth=1
	s_mov_b32 s1, exec_lo
	v_cmpx_lt_i32_e32 0, v57
	s_cbranch_execz .LBB7_121
; %bb.119:                              ;   in Loop: Header=BB7_15 Depth=1
	v_add_nc_u32_e32 v60, -1, v57
	v_readlane_b32 s4, v77, 17
	v_readlane_b32 s6, v77, 19
	;; [unrolled: 1-line block ×3, first 2 shown]
	v_add_nc_u32_e32 v2, 1, v57
	v_lshlrev_b64_e32 v[0:1], 2, v[60:61]
	v_readlane_b32 s5, v77, 18
	s_delay_alu instid0(VALU_DEP_2) | instskip(SKIP_1) | instid1(VALU_DEP_3)
	v_add_co_u32 v0, vcc_lo, v93, v0
	s_wait_alu 0xfffd
	v_add_co_ci_u32_e64 v1, null, v94, v1, vcc_lo
	s_wait_alu 0xf1ff
	s_delay_alu instid0(VALU_DEP_2) | instskip(SKIP_1) | instid1(VALU_DEP_2)
	v_add_co_u32 v0, vcc_lo, s6, v0
	s_wait_alu 0xfffd
	v_add_co_ci_u32_e64 v1, null, s7, v1, vcc_lo
.LBB7_120:                              ;   Parent Loop BB7_15 Depth=1
                                        ; =>  This Inner Loop Header: Depth=2
	global_load_b32 v3, v[0:1], off
	v_add_nc_u32_e32 v2, -1, v2
	s_delay_alu instid0(VALU_DEP_1)
	v_cmp_gt_u32_e32 vcc_lo, 2, v2
	s_or_b32 s2, vcc_lo, s2
	s_wait_loadcnt 0x0
	v_not_b32_e32 v3, v3
	global_store_b32 v[0:1], v3, off
	v_add_co_u32 v0, s0, v0, -4
	s_wait_alu 0xf1ff
	v_add_co_ci_u32_e64 v1, null, -1, v1, s0
	s_wait_alu 0xfffe
	s_and_not1_b32 exec_lo, exec_lo, s2
	s_cbranch_execnz .LBB7_120
.LBB7_121:                              ;   in Loop: Header=BB7_15 Depth=1
	v_writelane_b32 v75, s20, 17
	v_writelane_b32 v75, s19, 18
	;; [unrolled: 1-line block ×3, first 2 shown]
	s_wait_alu 0xfffe
	s_or_b32 exec_lo, exec_lo, s1
	scratch_load_b32 v0, off, off offset:4160
	s_mov_b32 s1, -1
	s_mov_b32 s0, 0
	s_mov_b32 s3, -1
	s_mov_b32 s2, 0
	s_mov_b32 s4, 0
	;; [unrolled: 1-line block ×15, first 2 shown]
	s_wait_loadcnt 0x0
	v_cmp_lt_i32_e32 vcc_lo, -1, v0
	s_mov_b32 s14, exec_lo
	s_wait_alu 0xfffe
	v_writelane_b32 v75, s14, 20
	s_and_b32 s14, s14, vcc_lo
	s_wait_alu 0xfffe
	s_mov_b32 exec_lo, s14
	s_cbranch_execz .LBB7_7
; %bb.122:                              ;   in Loop: Header=BB7_15 Depth=1
	v_readlane_b32 s2, v77, 1
	v_readlane_b32 s3, v77, 2
	v_dual_mov_b32 v0, v41 :: v_dual_mov_b32 v1, v42
	v_dual_mov_b32 v2, v41 :: v_dual_mov_b32 v3, v42
	;; [unrolled: 1-line block ×3, first 2 shown]
	s_wait_alu 0xf1ff
	v_dual_mov_b32 v6, s3 :: v_dual_mov_b32 v7, 0x1040
	v_mov_b32_e32 v8, s3
	s_getpc_b64 s[0:1]
	s_wait_alu 0xfffe
	s_sext_i32_i16 s1, s1
	s_add_co_u32 s0, s0, _ZN3sop13minatoIsopRecEPKjS1_iPNS_3SopEP7VecsMemIjLi8192EE@rel32@lo+12
	s_wait_alu 0xfffe
	s_add_co_ci_u32 s1, s1, _ZN3sop13minatoIsopRecEPKjS1_iPNS_3SopEP7VecsMemIjLi8192EE@rel32@hi+24
	s_mov_b64 s[8:9], s[84:85]
	v_writelane_b32 v75, s43, 10
	scratch_store_b32 off, v61, off offset:4160
	s_wait_alu 0xfffe
	s_swappc_b64 s[30:31], s[0:1]
	v_mov_b32_e32 v60, v57
	s_mov_b32 s0, 0
                                        ; implicit-def: $sgpr9
                                        ; implicit-def: $sgpr2
                                        ; implicit-def: $sgpr1
	s_branch .LBB7_124
.LBB7_123:                              ;   in Loop: Header=BB7_124 Depth=2
	s_wait_alu 0xfffe
	s_or_b32 exec_lo, exec_lo, s3
	s_delay_alu instid0(SALU_CYCLE_1)
	s_and_b32 s3, exec_lo, s2
	s_wait_alu 0xfffe
	s_or_b32 s0, s3, s0
	s_and_not1_b32 s3, s9, exec_lo
	s_and_b32 s4, s1, exec_lo
	s_wait_alu 0xfffe
	s_or_b32 s9, s3, s4
	s_and_not1_b32 exec_lo, exec_lo, s0
	s_cbranch_execz .LBB7_126
.LBB7_124:                              ;   Parent Loop BB7_15 Depth=1
                                        ; =>  This Inner Loop Header: Depth=2
	s_or_b32 s1, s1, exec_lo
	s_or_b32 s2, s2, exec_lo
	s_mov_b32 s3, exec_lo
	v_cmpx_lt_i32_e32 0, v60
	s_cbranch_execz .LBB7_123
; %bb.125:                              ;   in Loop: Header=BB7_124 Depth=2
	v_add_nc_u32_e32 v60, -1, v60
	s_wait_alu 0xfffe
	s_and_not1_b32 s2, s2, exec_lo
	s_and_not1_b32 s1, s1, exec_lo
	s_delay_alu instid0(VALU_DEP_1) | instskip(NEXT) | instid1(VALU_DEP_1)
	v_lshlrev_b64_e32 v[2:3], 2, v[60:61]
	v_add_co_u32 v4, vcc_lo, v41, v2
	s_wait_alu 0xfffd
	s_delay_alu instid0(VALU_DEP_2)
	v_add_co_ci_u32_e64 v5, null, v42, v3, vcc_lo
	v_add_co_u32 v2, vcc_lo, v0, v2
	s_wait_alu 0xfffd
	v_add_co_ci_u32_e64 v3, null, v1, v3, vcc_lo
	global_load_b32 v4, v[4:5], off
	flat_load_b32 v2, v[2:3]
	s_wait_loadcnt_dscnt 0x0
	v_cmp_ne_u32_e32 vcc_lo, v4, v2
	s_and_b32 s4, vcc_lo, exec_lo
	s_wait_alu 0xfffe
	s_or_b32 s2, s2, s4
	s_branch .LBB7_123
.LBB7_126:                              ;   in Loop: Header=BB7_15 Depth=1
	s_or_b32 exec_lo, exec_lo, s0
	s_mov_b32 s0, 0
	s_mov_b32 s1, -1
	s_mov_b32 s2, 0
	s_mov_b32 s3, 0
	;; [unrolled: 1-line block ×14, first 2 shown]
	s_mov_b32 s21, -1
	s_wait_alu 0xfffe
	s_and_saveexec_b32 s10, s9
	v_readlane_b32 s42, v76, 30
	v_readlane_b32 s43, v75, 10
	s_wait_alu 0xfffe
	s_xor_b32 s52, exec_lo, s10
	s_cbranch_execz .LBB7_6
; %bb.127:                              ;   in Loop: Header=BB7_15 Depth=1
	scratch_load_b32 v2, off, off offset:2052
	s_mov_b32 s1, 0
	s_mov_b32 s2, exec_lo
	s_wait_loadcnt 0x0
	v_cmpx_lt_i32_e32 0, v2
	s_wait_alu 0xfffe
	s_xor_b32 s2, exec_lo, s2
	s_cbranch_execz .LBB7_131
; %bb.128:                              ;   in Loop: Header=BB7_15 Depth=1
	s_mov_b32 s0, -1
	s_mov_b32 s3, exec_lo
	v_cmpx_eq_u32_e32 1, v2
	s_cbranch_execz .LBB7_130
; %bb.129:                              ;   in Loop: Header=BB7_15 Depth=1
	scratch_load_b64 v[0:1], off, off offset:2056
	s_wait_loadcnt 0x0
	flat_load_b32 v0, v[0:1]
	s_wait_loadcnt_dscnt 0x0
	v_cmp_eq_u32_e32 vcc_lo, 0, v0
	v_cmp_ne_u32_e64 s0, 0, v0
	s_and_b32 s1, vcc_lo, exec_lo
	s_wait_alu 0xfffe
	s_or_not1_b32 s0, s0, exec_lo
.LBB7_130:                              ;   in Loop: Header=BB7_15 Depth=1
	s_wait_alu 0xfffe
	s_or_b32 exec_lo, exec_lo, s3
	s_delay_alu instid0(SALU_CYCLE_1)
	s_and_b32 s1, s1, exec_lo
	s_and_b32 s0, s0, exec_lo
.LBB7_131:                              ;   in Loop: Header=BB7_15 Depth=1
	s_wait_alu 0xfffe
	s_and_not1_saveexec_b32 s2, s2
; %bb.132:                              ;   in Loop: Header=BB7_15 Depth=1
	v_cmp_ne_u32_e32 vcc_lo, 0, v2
	s_and_not1_b32 s0, s0, exec_lo
	s_or_b32 s1, s1, exec_lo
	s_and_b32 s3, vcc_lo, exec_lo
	s_wait_alu 0xfffe
	s_or_b32 s0, s0, s3
; %bb.133:                              ;   in Loop: Header=BB7_15 Depth=1
	s_or_b32 exec_lo, exec_lo, s2
	s_mov_b32 s53, 0
	s_mov_b32 s57, -1
	s_mov_b32 s3, 0
	s_mov_b32 s54, 0
	;; [unrolled: 1-line block ×4, first 2 shown]
	s_wait_alu 0xfffe
	s_and_saveexec_b32 s2, s0
	s_cbranch_execz .LBB7_148
; %bb.134:                              ;   in Loop: Header=BB7_15 Depth=1
	v_mov_b32_e32 v3, -1
	s_mov_b32 s0, 0
	s_mov_b32 s8, -1
	s_mov_b32 s4, -1
	s_mov_b32 s5, exec_lo
	v_cmpx_lt_i32_e32 0, v2
	s_cbranch_execz .LBB7_138
; %bb.135:                              ;   in Loop: Header=BB7_15 Depth=1
	scratch_load_b32 v1, off, off offset:4160
	s_mov_b32 s3, exec_lo
	s_wait_loadcnt 0x0
	v_dual_mov_b32 v3, -1 :: v_dual_add_nc_u32 v0, v1, v2
	s_delay_alu instid0(VALU_DEP_1)
	v_cmpx_gt_i32_e32 0x2001, v0
	s_cbranch_execz .LBB7_137
; %bb.136:                              ;   in Loop: Header=BB7_15 Depth=1
	v_lshlrev_b32_e32 v1, 2, v1
	s_mov_b32 s6, exec_lo
	scratch_store_b32 off, v0, off offset:4160
	v_add3_u32 v3, 0x1040, v1, 4
.LBB7_137:                              ;   in Loop: Header=BB7_15 Depth=1
	s_wait_alu 0xfffe
	s_or_b32 exec_lo, exec_lo, s3
	s_delay_alu instid0(SALU_CYCLE_1)
	s_mov_b32 s3, exec_lo
	s_xor_b32 s4, exec_lo, -1
	s_or_not1_b32 s8, s6, exec_lo
.LBB7_138:                              ;   in Loop: Header=BB7_15 Depth=1
	s_wait_alu 0xfffe
	s_or_b32 exec_lo, exec_lo, s5
	s_mov_b32 s6, 0
	s_and_saveexec_b32 s5, s8
	s_cbranch_execz .LBB7_147
; %bb.139:                              ;   in Loop: Header=BB7_15 Depth=1
	s_mov_b32 s8, -1
	s_mov_b32 s6, exec_lo
	v_cmpx_ne_u32_e32 -1, v3
	s_cbranch_execz .LBB7_146
; %bb.140:                              ;   in Loop: Header=BB7_15 Depth=1
	s_mov_b32 s7, exec_lo
	v_cmpx_lt_i32_e32 0, v2
	s_cbranch_execz .LBB7_145
; %bb.141:                              ;   in Loop: Header=BB7_15 Depth=1
	scratch_load_b64 v[0:1], off, off offset:2056
	v_dual_mov_b32 v4, v2 :: v_dual_mov_b32 v5, v3
	s_mov_b32 s8, 0
.LBB7_142:                              ;   Parent Loop BB7_15 Depth=1
                                        ; =>  This Inner Loop Header: Depth=2
	s_wait_loadcnt 0x0
	flat_load_b32 v6, v[0:1]
	v_add_nc_u32_e32 v4, -1, v4
	v_add_co_u32 v0, vcc_lo, v0, 4
	s_wait_alu 0xfffd
	v_add_co_ci_u32_e64 v1, null, 0, v1, vcc_lo
	s_delay_alu instid0(VALU_DEP_3)
	v_cmp_eq_u32_e64 s0, 0, v4
	s_wait_alu 0xfffe
	s_or_b32 s8, s0, s8
	s_wait_loadcnt_dscnt 0x0
	scratch_store_b32 v5, v6, off
	v_add_nc_u32_e32 v5, 4, v5
	s_wait_alu 0xfffe
	s_and_not1_b32 exec_lo, exec_lo, s8
	s_cbranch_execnz .LBB7_142
; %bb.143:                              ;   in Loop: Header=BB7_15 Depth=1
	s_or_b32 exec_lo, exec_lo, s8
	v_mov_b32_e32 v0, v2
	v_readlane_b32 s8, v77, 21
	s_mov_b32 s0, 0
.LBB7_144:                              ;   Parent Loop BB7_15 Depth=1
                                        ; =>  This Inner Loop Header: Depth=2
	scratch_load_b32 v1, v3, off
	v_add_nc_u32_e32 v0, -1, v0
	v_add_nc_u32_e32 v3, 4, v3
	s_delay_alu instid0(VALU_DEP_2)
	v_cmp_eq_u32_e32 vcc_lo, 0, v0
	s_wait_loadcnt 0x0
	scratch_store_b32 off, v1, s8
	s_add_co_i32 s8, s8, 4
	s_wait_alu 0xfffe
	s_or_b32 s0, vcc_lo, s0
	s_wait_alu 0xfffe
	s_and_not1_b32 exec_lo, exec_lo, s0
	s_cbranch_execnz .LBB7_144
.LBB7_145:                              ;   in Loop: Header=BB7_15 Depth=1
	s_wait_alu 0xfffe
	s_or_b32 exec_lo, exec_lo, s7
	scratch_load_b32 v0, off, off offset:4160
	s_mov_b32 s7, exec_lo
	s_xor_b32 s8, exec_lo, -1
	s_wait_loadcnt 0x0
	v_cmp_ge_i32_e32 vcc_lo, v0, v2
	s_and_b32 s0, vcc_lo, exec_lo
.LBB7_146:                              ;   in Loop: Header=BB7_15 Depth=1
	s_wait_alu 0xfffe
	s_or_b32 exec_lo, exec_lo, s6
	s_delay_alu instid0(SALU_CYCLE_1)
	s_and_not1_b32 s4, s4, exec_lo
	s_and_b32 s7, s7, exec_lo
	s_and_b32 s6, s8, exec_lo
	s_and_not1_b32 s3, s3, exec_lo
	s_and_b32 s0, s0, exec_lo
.LBB7_147:                              ;   in Loop: Header=BB7_15 Depth=1
	s_wait_alu 0xfffe
	s_or_b32 exec_lo, exec_lo, s5
	s_delay_alu instid0(SALU_CYCLE_1)
	s_or_not1_b32 s57, s4, exec_lo
	s_and_b32 s55, s7, exec_lo
	s_and_b32 s56, s6, exec_lo
	;; [unrolled: 1-line block ×4, first 2 shown]
	s_and_not1_b32 s1, s1, exec_lo
.LBB7_148:                              ;   in Loop: Header=BB7_15 Depth=1
	s_wait_alu 0xfffe
	s_or_b32 exec_lo, exec_lo, s2
	s_and_saveexec_b32 s0, s1
	s_cbranch_execz .LBB7_150
; %bb.149:                              ;   in Loop: Header=BB7_15 Depth=1
	scratch_load_b32 v0, off, off offset:4160
	s_and_not1_b32 s1, s3, exec_lo
	s_mov_b32 s53, exec_lo
	s_and_not1_b32 s57, s57, exec_lo
	s_and_not1_b32 s55, s55, exec_lo
	;; [unrolled: 1-line block ×4, first 2 shown]
	scratch_store_b32 off, v61, off offset:4164
	s_wait_loadcnt 0x0
	v_cmp_ge_i32_e32 vcc_lo, v0, v2
	s_and_b32 s2, vcc_lo, exec_lo
	s_wait_alu 0xfffe
	s_or_b32 s3, s1, s2
.LBB7_150:                              ;   in Loop: Header=BB7_15 Depth=1
	s_wait_alu 0xfffe
	s_or_b32 exec_lo, exec_lo, s0
	s_mov_b32 s1, -1
	s_mov_b32 s0, 0
	s_mov_b32 s2, 0
	;; [unrolled: 1-line block ×11, first 2 shown]
	s_and_saveexec_b32 s58, s3
	s_cbranch_execz .LBB7_5
; %bb.151:                              ;   in Loop: Header=BB7_15 Depth=1
	s_mov_b32 s82, 0
	s_mov_b32 s1, exec_lo
	s_clause 0x1
	scratch_store_b32 off, v2, off offset:4160
	scratch_store_b32 off, v40, off offset:38992
	v_cmpx_lt_i32_e32 0, v2
	s_wait_alu 0xfffe
	s_xor_b32 s1, exec_lo, s1
	s_cbranch_execz .LBB7_157
; %bb.152:                              ;   in Loop: Header=BB7_15 Depth=1
	s_mov_b32 s0, -1
	s_mov_b32 s3, 0
	s_mov_b32 s2, exec_lo
	v_cmpx_eq_u32_e32 1, v2
	s_cbranch_execz .LBB7_156
; %bb.153:                              ;   in Loop: Header=BB7_15 Depth=1
	scratch_load_b32 v0, off, off offset:4164
	s_wait_loadcnt 0x0
	v_cmp_eq_u32_e64 s0, 0, v0
	v_cmp_ne_u32_e32 vcc_lo, 0, v0
	s_wait_alu 0xfffe
	s_and_saveexec_b32 s4, s0
	s_wait_alu 0xfffe
	s_xor_b32 s0, exec_lo, s4
	s_cbranch_execz .LBB7_155
; %bb.154:                              ;   in Loop: Header=BB7_15 Depth=1
	v_lshlrev_b32_e32 v0, 3, v40
	s_mov_b32 s3, exec_lo
	scratch_store_b32 off, v47, off offset:38992
	scratch_store_b64 v0, v[72:73], off offset:39000
.LBB7_155:                              ;   in Loop: Header=BB7_15 Depth=1
	s_wait_alu 0xfffe
	s_or_b32 exec_lo, exec_lo, s0
	s_delay_alu instid0(SALU_CYCLE_1)
	s_and_b32 s3, s3, exec_lo
	s_or_not1_b32 s0, vcc_lo, exec_lo
.LBB7_156:                              ;   in Loop: Header=BB7_15 Depth=1
	s_wait_alu 0xfffe
	s_or_b32 exec_lo, exec_lo, s2
	s_delay_alu instid0(SALU_CYCLE_1)
	s_and_b32 s82, s3, exec_lo
	s_and_b32 s0, s0, exec_lo
.LBB7_157:                              ;   in Loop: Header=BB7_15 Depth=1
	s_wait_alu 0xfffe
	s_and_not1_saveexec_b32 s1, s1
; %bb.158:                              ;   in Loop: Header=BB7_15 Depth=1
	v_cmp_ne_u32_e32 vcc_lo, 0, v2
	s_and_not1_b32 s0, s0, exec_lo
	s_mov_b32 s14, exec_lo
	s_and_b32 s2, vcc_lo, exec_lo
	s_wait_alu 0xfffe
	s_or_b32 s0, s0, s2
; %bb.159:                              ;   in Loop: Header=BB7_15 Depth=1
	s_or_b32 exec_lo, exec_lo, s1
	v_mov_b32_e32 v6, v47
	s_mov_b32 s3, 0
	s_mov_b32 s5, s54
	;; [unrolled: 1-line block ×7, first 2 shown]
	s_wait_alu 0xfffe
	s_and_saveexec_b32 s15, s0
	s_cbranch_execz .LBB7_181
; %bb.160:                              ;   in Loop: Header=BB7_15 Depth=1
	v_mov_b32_e32 v0, -1
	s_mov_b32 s1, -1
	s_mov_b32 s4, 0
	s_mov_b32 s12, s54
	;; [unrolled: 1-line block ×7, first 2 shown]
	s_mov_b32 s0, exec_lo
	scratch_store_b32 off, v61, off offset:4132
	v_cmpx_lt_i32_e32 0, v2
	s_cbranch_execz .LBB7_164
; %bb.161:                              ;   in Loop: Header=BB7_15 Depth=1
	v_mov_b32_e32 v0, -1
	s_mov_b32 s1, 0
	s_mov_b32 s2, exec_lo
	v_cmpx_gt_u32_e32 0x1001, v2
	s_cbranch_execz .LBB7_163
; %bb.162:                              ;   in Loop: Header=BB7_15 Depth=1
	v_lshl_add_u32 v0, v2, 3, 0x1040
	v_lshlrev_b32_e32 v1, 2, v2
	s_mov_b32 s1, exec_lo
	s_delay_alu instid0(VALU_DEP_1) | instskip(SKIP_1) | instid1(VALU_DEP_2)
	v_sub_nc_u32_e32 v0, v0, v1
	v_lshlrev_b32_e32 v1, 1, v2
	v_add_nc_u32_e32 v0, 4, v0
	scratch_store_b32 off, v1, off offset:4160
.LBB7_163:                              ;   in Loop: Header=BB7_15 Depth=1
	s_wait_alu 0xfffe
	s_or_b32 exec_lo, exec_lo, s2
	s_delay_alu instid0(SALU_CYCLE_1)
	s_mov_b32 s8, exec_lo
	s_and_not1_b32 s11, s57, exec_lo
	s_and_not1_b32 s18, s53, exec_lo
	;; [unrolled: 1-line block ×5, first 2 shown]
	s_or_not1_b32 s1, s1, exec_lo
.LBB7_164:                              ;   in Loop: Header=BB7_15 Depth=1
	s_wait_alu 0xfffe
	s_or_b32 exec_lo, exec_lo, s0
	s_mov_b32 s0, s82
	s_mov_b32 s7, 0
                                        ; implicit-def: $vgpr6
	s_and_saveexec_b32 s22, s1
	s_cbranch_execz .LBB7_180
; %bb.165:                              ;   in Loop: Header=BB7_15 Depth=1
	v_readlane_b32 s0, v77, 1
	v_cmp_ne_u32_e32 vcc_lo, -1, v0
	v_readlane_b32 s1, v77, 2
	s_mov_b32 s0, exec_lo
	s_wait_alu 0xfffd
	v_cndmask_b32_e32 v3, 0, v0, vcc_lo
	s_wait_alu 0xf1ff
	v_cndmask_b32_e64 v4, 0, s1, vcc_lo
	scratch_store_b64 off, v[3:4], off offset:4136
	v_cmpx_lt_i32_e32 0, v2
	s_cbranch_execz .LBB7_169
; %bb.166:                              ;   in Loop: Header=BB7_15 Depth=1
	v_mov_b32_e32 v1, v2
	v_readlane_b32 s2, v77, 21
	s_mov_b32 s1, 0
.LBB7_167:                              ;   Parent Loop BB7_15 Depth=1
                                        ; =>  This Inner Loop Header: Depth=2
	scratch_load_b32 v3, off, s2
	v_add_nc_u32_e32 v1, -1, v1
	s_add_co_i32 s2, s2, 4
	s_delay_alu instid0(VALU_DEP_1) | instskip(SKIP_4) | instid1(VALU_DEP_1)
	v_cmp_eq_u32_e32 vcc_lo, 0, v1
	s_wait_alu 0xfffe
	s_or_b32 s1, vcc_lo, s1
	s_wait_loadcnt 0x0
	v_lshrrev_b32_e32 v4, 1, v3
	v_or_b32_e32 v4, v4, v3
	s_delay_alu instid0(VALU_DEP_1) | instskip(NEXT) | instid1(VALU_DEP_1)
	v_and_b32_e32 v4, 0x55555555, v4
	v_lshl_add_u32 v4, v4, 1, v4
	s_delay_alu instid0(VALU_DEP_1)
	v_xor_b32_e32 v3, v4, v3
	scratch_store_b32 v0, v3, off
	v_add_nc_u32_e32 v0, 4, v0
	s_wait_alu 0xfffe
	s_and_not1_b32 exec_lo, exec_lo, s1
	s_cbranch_execnz .LBB7_167
; %bb.168:                              ;   in Loop: Header=BB7_15 Depth=1
	s_or_b32 exec_lo, exec_lo, s1
	scratch_store_b32 off, v2, off offset:4132
.LBB7_169:                              ;   in Loop: Header=BB7_15 Depth=1
	s_wait_alu 0xfffe
	v_writelane_b32 v75, s22, 21
                                        ; implicit-def: $vgpr74 : SGPR spill to VGPR lane
	v_writelane_b32 v74, s56, 0
	v_writelane_b32 v75, s11, 22
	;; [unrolled: 1-line block ×15, first 2 shown]
	s_or_b32 exec_lo, exec_lo, s0
	v_readlane_b32 s2, v77, 1
	v_readlane_b32 s3, v77, 2
	v_lshlrev_b32_e32 v2, 1, v40
	v_mov_b32_e32 v0, 0x1020
	v_mov_b32_e32 v3, 0x1040
	s_wait_alu 0xf1ff
	v_dual_mov_b32 v5, 0x9850 :: v_dual_mov_b32 v6, s3
	v_dual_mov_b32 v1, s3 :: v_dual_mov_b32 v4, s3
	v_writelane_b32 v75, s84, 11
	s_getpc_b64 s[0:1]
	s_wait_alu 0xfffe
	s_sext_i32_i16 s1, s1
	s_add_co_u32 s0, s0, _ZN3sop12sopFactorRecEPNS_3SopEiP7VecsMemIjLi8192EEPN8subgUtil4SubgILi256EEE@rel32@lo+12
	s_wait_alu 0xfffe
	s_add_co_ci_u32 s1, s1, _ZN3sop12sopFactorRecEPNS_3SopEiP7VecsMemIjLi8192EEPN8subgUtil4SubgILi256EEE@rel32@hi+24
	s_mov_b64 s[8:9], s[84:85]
	v_writelane_b32 v75, s85, 12
	s_wait_alu 0xfffe
	s_swappc_b64 s[30:31], s[0:1]
	scratch_load_b32 v6, off, off offset:38992
	v_readlane_b32 s16, v75, 27
	v_readlane_b32 s17, v75, 26
	;; [unrolled: 1-line block ×6, first 2 shown]
	v_ashrrev_i32_e32 v1, 1, v0
	s_mov_b32 s8, 0
	s_mov_b32 s6, s82
	;; [unrolled: 1-line block ×9, first 2 shown]
	s_mov_b32 s9, exec_lo
	v_cmpx_ge_i32_e64 v1, v40
	v_readlane_b32 s52, v74, 4
	v_readlane_b32 s58, v75, 30
	;; [unrolled: 1-line block ×5, first 2 shown]
	s_wait_alu 0xfffe
	s_xor_b32 s9, exec_lo, s9
	s_cbranch_execz .LBB7_173
; %bb.170:                              ;   in Loop: Header=BB7_15 Depth=1
	s_wait_loadcnt 0x0
	v_lshlrev_b32_e32 v2, 3, v6
	s_mov_b32 s1, s82
	scratch_load_b64 v[0:1], v2, off offset:38992
	s_wait_loadcnt 0x0
	v_lshrrev_b32_e32 v3, 1, v0
	v_cmp_lt_i64_e32 vcc_lo, -1, v[0:1]
	s_delay_alu instid0(VALU_DEP_2)
	v_cmp_ge_i32_e64 s0, v3, v1
	s_and_b32 s0, vcc_lo, s0
	s_wait_alu 0xfffe
	s_and_saveexec_b32 s2, s0
	s_wait_alu 0xfffe
	s_xor_b32 s0, exec_lo, s2
	s_cbranch_execz .LBB7_172
; %bb.171:                              ;   in Loop: Header=BB7_15 Depth=1
	v_add_nc_u32_e32 v2, 0x9850, v2
	v_xor_b32_e32 v0, 1, v0
	s_or_b32 s1, s82, exec_lo
	scratch_store_b64 v2, v[0:1], off
.LBB7_172:                              ;   in Loop: Header=BB7_15 Depth=1
	s_wait_alu 0xfffe
	s_or_b32 exec_lo, exec_lo, s0
	s_delay_alu instid0(SALU_CYCLE_1)
	s_and_not1_b32 s6, s82, exec_lo
	s_and_b32 s10, s1, exec_lo
	s_mov_b32 s4, exec_lo
	s_and_not1_b32 s7, s21, exec_lo
	s_and_not1_b32 s5, s18, exec_lo
	s_and_not1_b32 s3, s20, exec_lo
	s_and_not1_b32 s2, s19, exec_lo
	s_and_not1_b32 s0, s17, exec_lo
	s_and_not1_b32 s1, s16, exec_lo
	s_wait_alu 0xfffe
	s_or_b32 s6, s6, s10
                                        ; implicit-def: $vgpr1
                                        ; implicit-def: $vgpr0
.LBB7_173:                              ;   in Loop: Header=BB7_15 Depth=1
	s_wait_alu 0xfffe
	s_or_saveexec_b32 s9, s9
	v_readlane_b32 s84, v75, 11
	v_readlane_b32 s85, v75, 12
	;; [unrolled: 1-line block ×9, first 2 shown]
	s_mov_b32 s10, 0
	s_wait_alu 0xfffe
	s_xor_b32 exec_lo, exec_lo, s9
	s_cbranch_execz .LBB7_179
; %bb.174:                              ;   in Loop: Header=BB7_15 Depth=1
	s_mov_b32 s12, -1
	s_mov_b32 s11, s6
	s_mov_b32 s8, exec_lo
	s_wait_loadcnt 0x0
	v_cmpx_eq_u32_e64 v6, v40
	s_cbranch_execz .LBB7_178
; %bb.175:                              ;   in Loop: Header=BB7_15 Depth=1
	v_ashrrev_i32_e32 v2, 31, v1
	s_mov_b32 s11, s6
	s_mov_b32 s10, exec_lo
	s_delay_alu instid0(VALU_DEP_1) | instskip(NEXT) | instid1(VALU_DEP_1)
	v_lshlrev_b64_e32 v[1:2], 2, v[1:2]
	v_add_co_u32 v1, vcc_lo, v91, v1
	s_wait_alu 0xfffd
	s_delay_alu instid0(VALU_DEP_2) | instskip(SKIP_3) | instid1(VALU_DEP_1)
	v_add_co_ci_u32_e64 v2, null, v92, v2, vcc_lo
	global_load_b32 v1, v[1:2], off
	s_wait_loadcnt 0x0
	v_lshlrev_b32_e32 v1, 1, v1
	v_cmpx_lt_i32_e32 -1, v1
	s_wait_alu 0xfffe
	s_xor_b32 s10, exec_lo, s10
	s_cbranch_execz .LBB7_177
; %bb.176:                              ;   in Loop: Header=BB7_15 Depth=1
	v_bfi_b32 v0, v0, 0, 1
	v_lshlrev_b32_e32 v2, 3, v40
	s_or_b32 s11, s6, exec_lo
	s_delay_alu instid0(VALU_DEP_2) | instskip(NEXT) | instid1(VALU_DEP_1)
	v_or_b32_e32 v1, v1, v0
	v_lshl_or_b32 v0, v1, 1, v0
	scratch_store_b32 off, v47, off offset:38992
	scratch_store_b64 v2, v[0:1], off offset:39000
.LBB7_177:                              ;   in Loop: Header=BB7_15 Depth=1
	s_wait_alu 0xfffe
	s_or_b32 exec_lo, exec_lo, s10
	s_delay_alu instid0(SALU_CYCLE_1)
	s_and_not1_b32 s13, s6, exec_lo
	s_and_b32 s11, s11, exec_lo
	s_mov_b32 s10, exec_lo
	s_xor_b32 s12, exec_lo, -1
	s_wait_alu 0xfffe
	s_or_b32 s11, s13, s11
.LBB7_178:                              ;   in Loop: Header=BB7_15 Depth=1
	s_wait_alu 0xfffe
	s_or_b32 exec_lo, exec_lo, s8
	s_delay_alu instid0(SALU_CYCLE_1)
	s_and_not1_b32 s6, s6, exec_lo
	s_and_b32 s11, s11, exec_lo
	s_and_not1_b32 s7, s7, exec_lo
	s_and_b32 s10, s10, exec_lo
	s_and_b32 s8, s12, exec_lo
	s_and_not1_b32 s4, s4, exec_lo
	s_and_not1_b32 s5, s5, exec_lo
	;; [unrolled: 1-line block ×5, first 2 shown]
	v_mov_b32_e32 v6, v47
	s_and_not1_b32 s1, s1, exec_lo
	s_wait_alu 0xfffe
	s_or_b32 s6, s6, s11
.LBB7_179:                              ;   in Loop: Header=BB7_15 Depth=1
	s_or_b32 exec_lo, exec_lo, s9
	s_delay_alu instid0(SALU_CYCLE_1)
	s_and_not1_b32 s9, s21, exec_lo
	s_and_b32 s7, s7, exec_lo
	s_and_b32 s5, s5, exec_lo
	s_wait_alu 0xfffe
	s_or_b32 s11, s9, s7
	s_and_b32 s9, s10, exec_lo
	s_and_b32 s7, s8, exec_lo
	s_and_not1_b32 s8, s18, exec_lo
	s_and_not1_b32 s10, s20, exec_lo
	s_and_b32 s3, s3, exec_lo
	s_wait_alu 0xfffe
	s_or_b32 s8, s8, s5
	s_or_b32 s18, s10, s3
	s_and_not1_b32 s3, s19, exec_lo
	s_and_b32 s2, s2, exec_lo
	s_and_not1_b32 s5, s17, exec_lo
	s_and_b32 s0, s0, exec_lo
	s_wait_alu 0xfffe
	s_or_b32 s13, s3, s2
	s_or_b32 s5, s5, s0
	s_and_not1_b32 s0, s16, exec_lo
	s_and_b32 s1, s1, exec_lo
	s_and_not1_b32 s2, s82, exec_lo
	s_and_b32 s3, s6, exec_lo
	s_and_b32 s4, s4, exec_lo
	s_wait_alu 0xfffe
	s_or_b32 s12, s0, s1
	s_or_b32 s0, s2, s3
.LBB7_180:                              ;   in Loop: Header=BB7_15 Depth=1
	s_wait_alu 0xfffe
	s_or_b32 exec_lo, exec_lo, s22
	s_delay_alu instid0(SALU_CYCLE_1)
	s_and_not1_b32 s1, s57, exec_lo
	s_and_b32 s2, s11, exec_lo
	s_and_b32 s10, s9, exec_lo
	s_wait_alu 0xfffe
	s_or_b32 s11, s1, s2
	s_and_not1_b32 s1, s53, exec_lo
	s_and_b32 s2, s18, exec_lo
	s_and_b32 s9, s7, exec_lo
	s_wait_alu 0xfffe
	s_or_b32 s7, s1, s2
	s_and_not1_b32 s1, s55, exec_lo
	s_and_b32 s2, s13, exec_lo
	s_and_b32 s6, s4, exec_lo
	;; [unrolled: 1-line block ×3, first 2 shown]
	s_and_not1_b32 s4, s56, exec_lo
	s_and_b32 s5, s5, exec_lo
	s_wait_alu 0xfffe
	s_or_b32 s8, s1, s2
	s_and_not1_b32 s1, s54, exec_lo
	s_and_b32 s2, s12, exec_lo
	s_and_not1_b32 s12, s82, exec_lo
	s_and_b32 s0, s0, exec_lo
	s_or_b32 s4, s4, s5
	s_wait_alu 0xfffe
	s_or_b32 s5, s1, s2
	s_or_b32 s82, s12, s0
	s_and_not1_b32 s14, s14, exec_lo
.LBB7_181:                              ;   in Loop: Header=BB7_15 Depth=1
	s_wait_alu 0xfffe
	s_or_b32 exec_lo, exec_lo, s15
	s_and_saveexec_b32 s0, s14
	s_cbranch_execz .LBB7_183
; %bb.182:                              ;   in Loop: Header=BB7_15 Depth=1
	s_wait_loadcnt 0x0
	v_mov_b32_e32 v6, v47
	v_lshlrev_b32_e32 v0, 3, v40
	v_mov_b32_e32 v60, v61
	s_or_b32 s82, s82, exec_lo
	scratch_store_b32 off, v47, off offset:38992
	scratch_store_b64 v0, v[60:61], off offset:39000
.LBB7_183:                              ;   in Loop: Header=BB7_15 Depth=1
	s_wait_alu 0xfffe
	s_or_b32 exec_lo, exec_lo, s0
	s_mov_b32 s1, -1
	s_mov_b32 s0, 0
	s_mov_b32 s13, 0
	;; [unrolled: 1-line block ×7, first 2 shown]
	s_and_saveexec_b32 s12, s82
	s_cbranch_execz .LBB7_4
; %bb.184:                              ;   in Loop: Header=BB7_15 Depth=1
	s_wait_loadcnt 0x0
	v_cmp_ne_u32_e64 s0, v6, v47
	s_mov_b32 s1, 0
	s_mov_b32 s2, exec_lo
	v_cmpx_eq_u32_e64 v6, v47
	s_cbranch_execz .LBB7_186
; %bb.185:                              ;   in Loop: Header=BB7_15 Depth=1
	v_lshlrev_b32_e32 v0, 3, v40
	s_wait_alu 0xfffe
	s_and_not1_b32 s0, s0, exec_lo
	s_mov_b32 s13, exec_lo
	scratch_load_b64 v[0:1], v0, off offset:39000
	s_wait_loadcnt 0x0
	v_lshrrev_b32_e32 v0, 1, v0
	s_delay_alu instid0(VALU_DEP_1)
	v_cmp_ne_u32_e32 vcc_lo, v0, v1
	s_and_b32 s14, vcc_lo, exec_lo
	s_wait_alu 0xfffe
	s_or_b32 s0, s0, s14
.LBB7_186:                              ;   in Loop: Header=BB7_15 Depth=1
	s_wait_alu 0xfffe
	s_or_b32 exec_lo, exec_lo, s2
	v_mov_b32_e32 v0, 0
	s_mov_b32 s15, s5
	s_mov_b32 s2, s4
	;; [unrolled: 1-line block ×10, first 2 shown]
	s_and_saveexec_b32 s14, s0
	s_cbranch_execz .LBB7_221
; %bb.187:                              ;   in Loop: Header=BB7_15 Depth=1
	v_cmp_lt_i32_e32 vcc_lo, 0, v40
	s_and_saveexec_b32 s0, vcc_lo
	v_readlane_b32 s16, v77, 7
	v_readlane_b32 s17, v77, 8
	;; [unrolled: 1-line block ×8, first 2 shown]
	s_cbranch_execz .LBB7_190
; %bb.188:                              ;   in Loop: Header=BB7_15 Depth=1
	v_mov_b32_e32 v0, v40
	s_movk_i32 s1, 0x400
	s_mov_b32 s2, 0
	s_mov_b32 s15, 0
.LBB7_189:                              ;   Parent Loop BB7_15 Depth=1
                                        ; =>  This Inner Loop Header: Depth=2
	global_load_b32 v1, v[91:92], off
	v_add_nc_u32_e32 v0, -1, v0
	s_wait_loadcnt 0x0
	v_ashrrev_i32_e32 v2, 31, v1
	scratch_store_b32 off, v1, s2
	s_wait_alu 0xfffe
	s_add_co_i32 s2, s2, 4
	v_lshlrev_b64_e32 v[2:3], 2, v[1:2]
	s_delay_alu instid0(VALU_DEP_1) | instskip(SKIP_1) | instid1(VALU_DEP_2)
	v_add_co_u32 v2, vcc_lo, s16, v2
	s_wait_alu 0xfffd
	v_add_co_ci_u32_e64 v3, null, s17, v3, vcc_lo
	v_add_co_u32 v91, vcc_lo, v91, 4
	s_wait_alu 0xfffd
	v_add_co_ci_u32_e64 v92, null, 0, v92, vcc_lo
	global_load_b32 v2, v[2:3], off
	v_cmp_eq_u32_e32 vcc_lo, 0, v0
	s_wait_loadcnt 0x0
	scratch_store_b32 off, v2, s1
	s_add_co_i32 s1, s1, 4
	s_or_b32 s15, vcc_lo, s15
	s_wait_alu 0xfffe
	s_and_not1_b32 exec_lo, exec_lo, s15
	s_cbranch_execnz .LBB7_189
.LBB7_190:                              ;   in Loop: Header=BB7_15 Depth=1
	s_wait_alu 0xfffe
	s_or_b32 exec_lo, exec_lo, s0
	v_mov_b32_e32 v1, 0
	s_mov_b32 s25, -1
	s_mov_b32 s0, 0
	s_mov_b32 s24, s5
	;; [unrolled: 1-line block ×12, first 2 shown]
	s_mov_b32 s15, exec_lo
	v_cmpx_lt_i32_e64 v40, v6
	s_cbranch_execz .LBB7_218
; %bb.191:                              ;   in Loop: Header=BB7_15 Depth=1
	v_dual_mov_b32 v7, 0 :: v_dual_mov_b32 v8, v40
                                        ; implicit-def: $sgpr19
                                        ; implicit-def: $sgpr18
                                        ; implicit-def: $sgpr16
                                        ; implicit-def: $sgpr17
                                        ; implicit-def: $sgpr23
                                        ; implicit-def: $sgpr21
                                        ; implicit-def: $sgpr22
                                        ; implicit-def: $sgpr24
                                        ; implicit-def: $sgpr25
	s_branch .LBB7_197
.LBB7_192:                              ;   in Loop: Header=BB7_197 Depth=2
	s_wait_alu 0xfffe
	s_or_b32 exec_lo, exec_lo, s34
	s_delay_alu instid0(SALU_CYCLE_1)
	s_and_not1_b32 s28, s28, exec_lo
	s_and_b32 s33, s33, exec_lo
	s_and_not1_b32 s29, s29, exec_lo
	s_wait_alu 0xfffe
	s_or_b32 s28, s28, s33
	s_or_not1_b32 s33, s31, exec_lo
.LBB7_193:                              ;   in Loop: Header=BB7_197 Depth=2
	s_wait_alu 0xfffe
	s_or_b32 exec_lo, exec_lo, s30
	s_delay_alu instid0(SALU_CYCLE_1)
	s_and_not1_b32 s1, s1, exec_lo
	s_and_b32 s28, s28, exec_lo
	s_and_not1_b32 s0, s0, exec_lo
	s_and_b32 s29, s29, exec_lo
	s_wait_alu 0xfffe
	s_or_b32 s1, s1, s28
	s_or_b32 s0, s0, s29
	s_or_not1_b32 s28, s33, exec_lo
.LBB7_194:                              ;   in Loop: Header=BB7_197 Depth=2
	s_wait_alu 0xfffe
	s_or_b32 exec_lo, exec_lo, s2
	s_delay_alu instid0(SALU_CYCLE_1)
	s_and_b32 s1, s1, exec_lo
	s_or_not1_b32 s2, s0, exec_lo
	s_or_not1_b32 s0, s28, exec_lo
.LBB7_195:                              ;   in Loop: Header=BB7_197 Depth=2
	s_wait_alu 0xfffe
	s_or_b32 exec_lo, exec_lo, s27
	s_delay_alu instid0(SALU_CYCLE_1)
	s_and_not1_b32 s25, s25, exec_lo
	s_and_b32 s1, s1, exec_lo
	s_and_not1_b32 s24, s24, exec_lo
	s_and_b32 s2, s2, exec_lo
	s_wait_alu 0xfffe
	s_or_b32 s25, s25, s1
	s_and_not1_b32 s1, s23, exec_lo
	s_and_b32 s0, s0, exec_lo
	s_or_b32 s24, s24, s2
	s_and_not1_b32 s22, s22, exec_lo
	s_or_b32 s21, s21, exec_lo
	s_wait_alu 0xfffe
	s_or_b32 s23, s1, s0
.LBB7_196:                              ;   in Loop: Header=BB7_197 Depth=2
	s_wait_alu 0xfffe
	s_or_b32 exec_lo, exec_lo, s26
	s_xor_b32 s0, s25, -1
	s_xor_b32 s1, s24, -1
	s_and_b32 s2, exec_lo, s23
	s_wait_alu 0xfffe
	s_or_b32 s20, s2, s20
	s_and_not1_b32 s2, s17, exec_lo
	s_and_b32 s17, s22, exec_lo
	s_and_not1_b32 s16, s16, exec_lo
	s_and_b32 s26, s21, exec_lo
	s_wait_alu 0xfffe
	s_or_b32 s17, s2, s17
	s_and_not1_b32 s2, s18, exec_lo
	s_and_b32 s0, s0, exec_lo
	s_and_not1_b32 s19, s19, exec_lo
	s_and_b32 s1, s1, exec_lo
	s_or_b32 s16, s16, s26
	s_wait_alu 0xfffe
	s_or_b32 s18, s2, s0
	s_or_b32 s19, s19, s1
	s_and_not1_b32 exec_lo, exec_lo, s20
	s_cbranch_execz .LBB7_215
.LBB7_197:                              ;   Parent Loop BB7_15 Depth=1
                                        ; =>  This Loop Header: Depth=2
                                        ;       Child Loop BB7_203 Depth 3
	s_delay_alu instid0(VALU_DEP_1)
	v_lshlrev_b32_e32 v0, 3, v8
	s_wait_alu 0xfffe
	s_and_not1_b32 s25, s25, exec_lo
	s_or_b32 s24, s24, exec_lo
	s_or_b32 s22, s22, exec_lo
	s_and_not1_b32 s21, s21, exec_lo
	scratch_load_b64 v[0:1], v0, off offset:39000
	s_or_b32 s23, s23, exec_lo
	s_mov_b32 s26, exec_lo
	s_wait_loadcnt 0x0
	v_lshrrev_b32_e32 v2, 1, v0
	s_delay_alu instid0(VALU_DEP_1)
	v_cmpx_gt_i32_e64 v2, v1
	s_cbranch_execz .LBB7_196
; %bb.198:                              ;   in Loop: Header=BB7_197 Depth=2
	v_ashrrev_i32_e32 v3, 1, v1
	v_lshrrev_b32_e32 v2, 2, v0
	s_mov_b32 s0, -1
	s_mov_b32 s1, 0
	s_mov_b32 s2, -1
	s_mov_b32 s27, exec_lo
	v_max_i32_e32 v4, v2, v3
	s_delay_alu instid0(VALU_DEP_1)
	v_cmpx_lt_i32_e64 v4, v8
	s_cbranch_execz .LBB7_195
; %bb.199:                              ;   in Loop: Header=BB7_197 Depth=2
	v_dual_mov_b32 v4, -1 :: v_dual_lshlrev_b32 v9, 2, v3
	v_lshlrev_b32_e32 v10, 2, v2
	s_mov_b32 s28, -1
	s_mov_b32 s30, -1
	s_clause 0x1
	scratch_load_b32 v2, v9, off
	scratch_load_b32 v3, v10, off
	s_wait_loadcnt 0x1
	v_cmp_ne_u32_e32 vcc_lo, -1, v2
	s_wait_loadcnt 0x0
	v_cmp_ne_u32_e64 s0, -1, v3
	s_wait_alu 0xfffe
	s_and_b32 s2, vcc_lo, s0
	s_mov_b32 s0, -1
	s_wait_alu 0xfffe
	s_and_saveexec_b32 s29, s2
	s_cbranch_execz .LBB7_209
; %bb.200:                              ;   in Loop: Header=BB7_197 Depth=2
	v_readlane_b32 s38, v77, 30
	v_readlane_b32 s39, v77, 31
	v_and_b32_e32 v1, 1, v1
	v_bfe_u32 v0, v0, 1, 1
	v_readlane_b32 s44, v76, 0
	s_cvt_f32_u32 s0, s38
	s_cvt_f32_u32 s1, s39
	v_lshl_or_b32 v2, v2, 1, v1
	v_lshl_or_b32 v0, v3, 1, v0
	v_readlane_b32 s45, v76, 1
	s_wait_alu 0xfffe
	s_fmamk_f32 s0, s1, 0x4f800000, s0
	v_readlane_b32 s36, v77, 24
	v_readlane_b32 s37, v77, 25
	v_min_i32_e32 v1, v2, v0
	s_wait_alu 0xfffe
	v_s_rcp_f32 s0, s0
	v_max_i32_e32 v0, v2, v0
	s_mov_b32 s41, s37
	v_lshrrev_b32_e32 v2, 1, v1
	v_mul_lo_u32 v4, 0xed558ccd, v1
	s_delay_alu instid0(TRANS32_DEP_1) | instskip(NEXT) | instid1(VALU_DEP_2)
	s_mul_f32 s0, s0, 0x5f7ffffc
	v_xor_b32_e32 v2, v0, v2
	s_wait_alu 0xfffe
	s_delay_alu instid0(SALU_CYCLE_1) | instskip(NEXT) | instid1(VALU_DEP_1)
	s_mul_f32 s1, s0, 0x2f800000
	v_mul_lo_u32 v5, 0xff51afd7, v2
	s_wait_alu 0xfffe
	s_delay_alu instid0(SALU_CYCLE_1) | instskip(SKIP_2) | instid1(SALU_CYCLE_1)
	s_trunc_f32 s1, s1
	v_mad_co_u64_u32 v[2:3], null, 0xed558ccd, v2, 0
	s_wait_alu 0xfffe
	s_fmamk_f32 s0, s1, 0xcf800000, s0
	s_cvt_u32_f32 s1, s1
	s_wait_alu 0xfffe
	s_delay_alu instid0(SALU_CYCLE_1) | instskip(NEXT) | instid1(VALU_DEP_1)
	s_cvt_u32_f32 s0, s0
	v_add3_u32 v3, v3, v5, v4
	s_wait_alu 0xfffe
	s_delay_alu instid0(SALU_CYCLE_1) | instskip(NEXT) | instid1(VALU_DEP_1)
	s_mul_u64 s[30:31], s[44:45], s[0:1]
	v_lshrrev_b32_e32 v4, 1, v3
	s_wait_alu 0xfffe
	s_mul_hi_u32 s35, s0, s31
	s_mul_i32 s34, s0, s31
	s_mul_hi_u32 s40, s0, s30
	s_mul_i32 s33, s1, s30
	s_wait_alu 0xfffe
	s_add_nc_u64 s[34:35], s[40:41], s[34:35]
	s_mul_hi_u32 s2, s1, s30
	s_mul_hi_u32 s36, s1, s31
	s_mul_i32 s30, s1, s31
	s_wait_alu 0xfffe
	s_add_co_u32 s31, s34, s33
	s_add_co_ci_u32 s40, s35, s2
	s_add_co_ci_u32 s31, s36, 0
	v_xor_b32_e32 v2, v4, v2
	s_wait_alu 0xfffe
	s_add_nc_u64 s[30:31], s[40:41], s[30:31]
	v_mul_lo_u32 v4, 0x1a85ec53, v3
	s_wait_alu 0xfffe
	s_add_co_u32 s0, s0, s30
	s_cselect_b32 s2, -1, 0
	v_mul_lo_u32 v5, 0xc4ceb9fe, v2
	v_mad_co_u64_u32 v[2:3], null, 0x1a85ec53, v2, 0
	s_wait_alu 0xfffe
	s_cmp_lg_u32 s2, 0
	s_add_co_ci_u32 s1, s1, s31
	s_wait_alu 0xfffe
	s_mul_u64 s[30:31], s[44:45], s[0:1]
	s_wait_alu 0xfffe
	s_mul_hi_u32 s35, s0, s31
	s_mul_i32 s34, s0, s31
	s_mul_hi_u32 s40, s0, s30
	v_add3_u32 v13, v3, v5, v4
	s_mul_i32 s33, s1, s30
	s_wait_alu 0xfffe
	s_add_nc_u64 s[34:35], s[40:41], s[34:35]
	s_mul_hi_u32 s2, s1, s30
	s_mul_hi_u32 s36, s1, s31
	s_mul_i32 s30, s1, s31
	s_wait_alu 0xfffe
	s_add_co_u32 s31, s34, s33
	s_add_co_ci_u32 s40, s35, s2
	s_add_co_ci_u32 s31, s36, 0
	v_lshrrev_b32_e32 v3, 1, v13
	s_wait_alu 0xfffe
	s_add_nc_u64 s[30:31], s[40:41], s[30:31]
	s_mov_b32 s35, s37
	s_wait_alu 0xfffe
	s_add_co_u32 s0, s0, s30
	s_cselect_b32 s2, -1, 0
	v_xor_b32_e32 v14, v3, v2
	s_wait_alu 0xfffe
	s_cmp_lg_u32 s2, 0
	v_mad_co_u64_u32 v[4:5], null, v13, s0, 0
	s_add_co_ci_u32 s1, s1, s31
	v_mul_hi_u32 v15, v14, s0
	s_wait_alu 0xfffe
	v_mad_co_u64_u32 v[2:3], null, v14, s1, 0
	v_mad_co_u64_u32 v[11:12], null, v13, s1, 0
	v_writelane_b32 v77, s34, 24
	s_delay_alu instid0(VALU_DEP_3) | instskip(SKIP_1) | instid1(VALU_DEP_4)
	v_add_co_u32 v2, vcc_lo, v15, v2
	s_wait_alu 0xfffd
	v_add_co_ci_u32_e64 v3, null, 0, v3, vcc_lo
	v_writelane_b32 v77, s35, 25
	s_delay_alu instid0(VALU_DEP_3) | instskip(SKIP_1) | instid1(VALU_DEP_3)
	v_add_co_u32 v2, vcc_lo, v2, v4
	s_wait_alu 0xfffd
	v_add_co_ci_u32_e32 v2, vcc_lo, v3, v5, vcc_lo
	s_wait_alu 0xfffd
	v_add_co_ci_u32_e32 v3, vcc_lo, 0, v12, vcc_lo
	s_delay_alu instid0(VALU_DEP_2) | instskip(SKIP_1) | instid1(VALU_DEP_2)
	v_add_co_u32 v2, vcc_lo, v2, v11
	s_wait_alu 0xfffd
	v_add_co_ci_u32_e64 v4, null, 0, v3, vcc_lo
	s_delay_alu instid0(VALU_DEP_2) | instskip(SKIP_1) | instid1(VALU_DEP_3)
	v_mul_lo_u32 v5, s39, v2
	v_mad_co_u64_u32 v[2:3], null, s38, v2, 0
	v_mul_lo_u32 v4, s38, v4
	s_delay_alu instid0(VALU_DEP_2) | instskip(NEXT) | instid1(VALU_DEP_2)
	v_sub_co_u32 v2, vcc_lo, v14, v2
	v_add3_u32 v3, v3, v4, v5
	s_delay_alu instid0(VALU_DEP_2) | instskip(NEXT) | instid1(VALU_DEP_2)
	v_sub_co_u32 v5, s0, v2, s38
	v_sub_nc_u32_e32 v4, v13, v3
	v_cmp_le_u32_e64 s1, s38, v2
	s_wait_alu 0xfffd
	v_sub_co_ci_u32_e64 v3, null, v13, v3, vcc_lo
	s_delay_alu instid0(VALU_DEP_3)
	v_subrev_co_ci_u32_e64 v4, null, s39, v4, vcc_lo
	v_cmp_le_u32_e32 vcc_lo, s38, v5
	s_wait_alu 0xf1ff
	v_cndmask_b32_e64 v12, 0, -1, s1
	v_cmp_le_u32_e64 s1, s39, v3
	v_subrev_co_ci_u32_e64 v11, null, 0, v4, s0
	s_wait_alu 0xfffd
	v_cndmask_b32_e64 v13, 0, -1, vcc_lo
	v_subrev_co_ci_u32_e64 v4, null, s39, v4, s0
	s_delay_alu instid0(VALU_DEP_3)
	v_cmp_le_u32_e64 s2, s39, v11
	v_cmp_eq_u32_e32 vcc_lo, s39, v11
	s_wait_alu 0xf1ff
	v_cndmask_b32_e64 v15, 0, -1, s1
	s_mov_b32 s1, -1
	v_cndmask_b32_e64 v14, 0, -1, s2
	v_cmp_eq_u32_e64 s2, s39, v3
	s_wait_alu 0xfffd
	s_delay_alu instid0(VALU_DEP_2)
	v_cndmask_b32_e32 v13, v14, v13, vcc_lo
	v_sub_co_u32 v14, vcc_lo, v5, s38
	s_wait_alu 0xfffd
	v_subrev_co_ci_u32_e64 v4, null, 0, v4, vcc_lo
	s_wait_alu 0xf1ff
	v_cndmask_b32_e64 v12, v15, v12, s2
	v_cmp_ne_u32_e32 vcc_lo, 0, v13
	v_readlane_b32 s36, v77, 3
	v_readlane_b32 s37, v77, 4
	;; [unrolled: 1-line block ×3, first 2 shown]
	v_cmp_ne_u32_e64 s0, 0, v12
	s_wait_alu 0xfffd
	v_dual_cndmask_b32 v4, v11, v4 :: v_dual_cndmask_b32 v5, v5, v14
	v_readlane_b32 s39, v77, 6
	s_wait_alu 0xf1ff
	s_delay_alu instid0(VALU_DEP_2) | instskip(NEXT) | instid1(VALU_DEP_3)
	v_cndmask_b32_e64 v3, v3, v4, s0
	v_cndmask_b32_e64 v2, v2, v5, s0
	s_mov_b32 s0, exec_lo
	s_delay_alu instid0(VALU_DEP_1) | instskip(NEXT) | instid1(VALU_DEP_1)
	v_lshlrev_b64_e32 v[4:5], 3, v[2:3]
	v_add_co_u32 v4, vcc_lo, s36, v4
	s_wait_alu 0xfffd
	s_delay_alu instid0(VALU_DEP_2)
	v_add_co_ci_u32_e64 v5, null, s37, v5, vcc_lo
	global_load_b64 v[4:5], v[4:5], off
	s_wait_loadcnt 0x0
	v_cmpx_ne_u64_e64 v[4:5], v[0:1]
	s_cbranch_execz .LBB7_206
; %bb.201:                              ;   in Loop: Header=BB7_197 Depth=2
	s_mov_b32 s1, 0
                                        ; implicit-def: $sgpr2
                                        ; implicit-def: $sgpr31
                                        ; implicit-def: $sgpr30
	s_branch .LBB7_203
.LBB7_202:                              ;   in Loop: Header=BB7_203 Depth=3
	s_wait_alu 0xfffe
	s_or_b32 exec_lo, exec_lo, s33
	s_xor_b32 s33, s30, -1
	s_and_b32 s34, exec_lo, s31
	s_wait_alu 0xfffe
	s_or_b32 s1, s34, s1
	s_and_not1_b32 s2, s2, exec_lo
	s_and_b32 s33, s33, exec_lo
	s_wait_alu 0xfffe
	s_or_b32 s2, s2, s33
	s_and_not1_b32 exec_lo, exec_lo, s1
	s_cbranch_execz .LBB7_205
.LBB7_203:                              ;   Parent Loop BB7_15 Depth=1
                                        ;     Parent Loop BB7_197 Depth=2
                                        ; =>    This Inner Loop Header: Depth=3
	v_cmp_ne_u64_e32 vcc_lo, -1, v[4:5]
	s_or_b32 s30, s30, exec_lo
	s_or_b32 s31, s31, exec_lo
                                        ; implicit-def: $vgpr4_vgpr5
	s_and_saveexec_b32 s33, vcc_lo
	s_cbranch_execz .LBB7_202
; %bb.204:                              ;   in Loop: Header=BB7_203 Depth=3
	v_add_co_u32 v2, vcc_lo, v2, 1
	v_readlane_b32 s34, v77, 30
	s_wait_alu 0xfffd
	v_add_co_ci_u32_e64 v3, null, 0, v3, vcc_lo
	v_readlane_b32 s35, v77, 31
	v_readlane_b32 s36, v77, 3
	;; [unrolled: 1-line block ×3, first 2 shown]
	s_wait_alu 0xfffe
	s_and_not1_b32 s31, s31, exec_lo
	s_and_not1_b32 s30, s30, exec_lo
	v_cmp_ne_u64_e32 vcc_lo, s[34:35], v[2:3]
	v_readlane_b32 s38, v77, 5
	v_readlane_b32 s39, v77, 6
	s_wait_alu 0xfffd
	v_dual_cndmask_b32 v3, 0, v3 :: v_dual_cndmask_b32 v2, 0, v2
	s_delay_alu instid0(VALU_DEP_1) | instskip(NEXT) | instid1(VALU_DEP_1)
	v_lshlrev_b64_e32 v[4:5], 3, v[2:3]
	v_add_co_u32 v4, vcc_lo, s36, v4
	s_wait_alu 0xfffd
	s_delay_alu instid0(VALU_DEP_2)
	v_add_co_ci_u32_e64 v5, null, s37, v5, vcc_lo
	global_load_b64 v[4:5], v[4:5], off
	s_wait_loadcnt 0x0
	v_cmp_eq_u64_e32 vcc_lo, v[4:5], v[0:1]
	s_and_b32 s34, vcc_lo, exec_lo
	s_wait_alu 0xfffe
	s_or_b32 s31, s31, s34
	s_branch .LBB7_202
.LBB7_205:                              ;   in Loop: Header=BB7_197 Depth=2
	s_or_b32 exec_lo, exec_lo, s1
	s_wait_alu 0xfffe
	s_or_not1_b32 s1, s2, exec_lo
.LBB7_206:                              ;   in Loop: Header=BB7_197 Depth=2
	s_wait_alu 0xfffe
	s_or_b32 exec_lo, exec_lo, s0
	v_mov_b32_e32 v4, -1
	s_and_saveexec_b32 s0, s1
	s_cbranch_execz .LBB7_208
; %bb.207:                              ;   in Loop: Header=BB7_197 Depth=2
	v_lshlrev_b64_e32 v[0:1], 2, v[2:3]
	v_readlane_b32 s36, v77, 3
	v_readlane_b32 s38, v77, 5
	;; [unrolled: 1-line block ×4, first 2 shown]
	s_wait_alu 0xf1ff
	s_delay_alu instid0(VALU_DEP_3)
	v_add_co_u32 v0, vcc_lo, s38, v0
	s_wait_alu 0xfffd
	v_add_co_ci_u32_e64 v1, null, s39, v1, vcc_lo
	global_load_b32 v4, v[0:1], off
.LBB7_208:                              ;   in Loop: Header=BB7_197 Depth=2
	s_wait_alu 0xfffe
	s_or_b32 exec_lo, exec_lo, s0
	s_wait_loadcnt 0x0
	v_cmp_ne_u32_e32 vcc_lo, v4, v90
	s_mov_b32 s1, exec_lo
	s_xor_b32 s0, exec_lo, -1
	s_or_not1_b32 s30, vcc_lo, exec_lo
.LBB7_209:                              ;   in Loop: Header=BB7_197 Depth=2
	s_wait_alu 0xfffe
	s_or_b32 exec_lo, exec_lo, s29
	s_and_saveexec_b32 s2, s30
	s_cbranch_execz .LBB7_194
; %bb.210:                              ;   in Loop: Header=BB7_197 Depth=2
	v_cmp_ne_u32_e64 s31, -1, v4
	s_mov_b32 s29, s0
	s_mov_b32 s28, s1
	s_mov_b32 s30, exec_lo
	v_cmpx_eq_u32_e32 -1, v4
; %bb.211:                              ;   in Loop: Header=BB7_197 Depth=2
	v_add_nc_u32_e32 v0, 1, v7
	v_cmp_lt_i32_e32 vcc_lo, v7, v46
	s_and_not1_b32 s31, s31, exec_lo
	s_or_b32 s28, s1, exec_lo
	s_and_not1_b32 s29, s0, exec_lo
	v_mov_b32_e32 v7, v0
	s_and_b32 s33, vcc_lo, exec_lo
	s_wait_alu 0xfffe
	s_or_b32 s31, s31, s33
; %bb.212:                              ;   in Loop: Header=BB7_197 Depth=2
	s_or_b32 exec_lo, exec_lo, s30
	s_mov_b32 s33, -1
	s_wait_alu 0xfffe
	s_and_saveexec_b32 s30, s31
	s_cbranch_execz .LBB7_193
; %bb.213:                              ;   in Loop: Header=BB7_197 Depth=2
	s_clause 0x1
	scratch_load_b32 v0, v9, off offset:1024
	scratch_load_b32 v1, v10, off offset:1024
	s_mov_b32 s31, -1
	s_mov_b32 s34, exec_lo
	s_wait_loadcnt 0x0
	v_max_i32_e32 v1, v0, v1
	v_lshlrev_b32_e32 v0, 2, v8
	s_delay_alu instid0(VALU_DEP_2)
	v_add_nc_u32_e32 v2, 1, v1
	scratch_store_b32 v0, v2, off offset:1024
	v_cmpx_gt_i32_e32 0x3b9aca00, v1
	s_cbranch_execz .LBB7_192
; %bb.214:                              ;   in Loop: Header=BB7_197 Depth=2
	v_add_nc_u32_e32 v8, 1, v8
	s_xor_b32 s33, exec_lo, -1
	scratch_store_b32 v0, v4, off
	v_cmp_ge_i32_e32 vcc_lo, v8, v6
	s_or_not1_b32 s31, vcc_lo, exec_lo
	s_branch .LBB7_192
.LBB7_215:                              ;   in Loop: Header=BB7_15 Depth=1
	s_or_b32 exec_lo, exec_lo, s20
	v_mov_b32_e32 v1, 0
	s_mov_b32 s25, 0
	s_mov_b32 s0, 0
	s_wait_alu 0xfffe
	s_and_saveexec_b32 s1, s19
	s_wait_alu 0xfffe
	s_xor_b32 s1, exec_lo, s1
; %bb.216:                              ;   in Loop: Header=BB7_15 Depth=1
	v_mov_b32_e32 v1, v7
	s_mov_b32 s0, exec_lo
	s_and_b32 s25, s18, exec_lo
; %bb.217:                              ;   in Loop: Header=BB7_15 Depth=1
	s_wait_alu 0xfffe
	s_or_b32 exec_lo, exec_lo, s1
	s_delay_alu instid0(SALU_CYCLE_1)
	s_and_not1_b32 s23, s11, exec_lo
	s_and_b32 s20, s16, exec_lo
	s_and_b32 s1, s17, exec_lo
	s_and_not1_b32 s21, s10, exec_lo
	s_and_not1_b32 s22, s9, exec_lo
	s_and_not1_b32 s18, s6, exec_lo
	s_and_not1_b32 s19, s3, exec_lo
	s_and_not1_b32 s16, s7, exec_lo
	s_and_not1_b32 s17, s8, exec_lo
	s_and_not1_b32 s2, s4, exec_lo
	s_and_not1_b32 s24, s5, exec_lo
	s_and_b32 s0, s0, exec_lo
	s_or_not1_b32 s25, s25, exec_lo
.LBB7_218:                              ;   in Loop: Header=BB7_15 Depth=1
	s_wait_alu 0xfffe
	s_or_b32 exec_lo, exec_lo, s15
	v_mov_b32_e32 v0, -1
	s_and_saveexec_b32 s15, s25
	s_cbranch_execz .LBB7_220
; %bb.219:                              ;   in Loop: Header=BB7_15 Depth=1
	v_lshlrev_b32_e32 v0, 2, v6
	s_or_b32 s0, s0, exec_lo
	scratch_load_b32 v44, v0, off offset:1020
	v_mov_b32_e32 v0, v1
.LBB7_220:                              ;   in Loop: Header=BB7_15 Depth=1
	s_wait_alu 0xfffe
	s_or_b32 exec_lo, exec_lo, s15
	s_delay_alu instid0(SALU_CYCLE_1)
	s_and_not1_b32 s15, s11, exec_lo
	s_and_b32 s23, s23, exec_lo
	s_and_b32 s21, s21, exec_lo
	s_wait_alu 0xfffe
	s_or_b32 s23, s15, s23
	s_and_not1_b32 s15, s10, exec_lo
	s_and_b32 s22, s22, exec_lo
	s_wait_alu 0xfffe
	s_or_b32 s21, s15, s21
	s_and_not1_b32 s15, s9, exec_lo
	s_and_not1_b32 s25, s6, exec_lo
	s_and_b32 s18, s18, exec_lo
	s_wait_alu 0xfffe
	s_or_b32 s22, s15, s22
	s_and_not1_b32 s15, s3, exec_lo
	s_and_b32 s19, s19, exec_lo
	s_or_b32 s18, s25, s18
	s_and_not1_b32 s25, s7, exec_lo
	s_and_b32 s16, s16, exec_lo
	s_wait_alu 0xfffe
	s_or_b32 s19, s15, s19
	s_and_not1_b32 s15, s8, exec_lo
	s_and_b32 s17, s17, exec_lo
	s_or_b32 s16, s25, s16
	s_and_not1_b32 s25, s4, exec_lo
	s_and_b32 s2, s2, exec_lo
	s_wait_alu 0xfffe
	s_or_b32 s17, s15, s17
	s_and_not1_b32 s15, s5, exec_lo
	s_and_b32 s24, s24, exec_lo
	s_and_not1_b32 s13, s13, exec_lo
	s_and_b32 s0, s0, exec_lo
	s_and_b32 s20, s20, exec_lo
	;; [unrolled: 1-line block ×3, first 2 shown]
	s_or_b32 s2, s25, s2
	s_wait_alu 0xfffe
	s_or_b32 s15, s15, s24
	s_or_b32 s13, s13, s0
.LBB7_221:                              ;   in Loop: Header=BB7_15 Depth=1
	s_wait_alu 0xfffe
	s_or_b32 exec_lo, exec_lo, s14
	s_mov_b32 s24, -1
	s_mov_b32 s34, 0
	s_mov_b32 s35, 0
	;; [unrolled: 1-line block ×5, first 2 shown]
	s_and_saveexec_b32 s14, s13
	s_cbranch_execz .LBB7_3
; %bb.222:                              ;   in Loop: Header=BB7_15 Depth=1
	v_ashrrev_i32_e32 v2, 31, v56
	s_mov_b32 s13, exec_lo
	v_cmpx_lt_i32_e32 -1, v0
	s_cbranch_execz .LBB7_234
; %bb.223:                              ;   in Loop: Header=BB7_15 Depth=1
	v_mov_b32_e32 v1, 1
	s_mov_b32 s24, exec_lo
	v_cmpx_ne_u32_e32 -1, v56
	s_cbranch_execz .LBB7_233
; %bb.224:                              ;   in Loop: Header=BB7_15 Depth=1
	s_mov_b32 s0, -1
	s_mov_b32 s25, exec_lo
	v_cmpx_ge_i32_e64 v0, v56
	s_cbranch_execz .LBB7_230
; %bb.225:                              ;   in Loop: Header=BB7_15 Depth=1
	s_mov_b32 s0, 0
	s_mov_b32 s26, exec_lo
	v_cmpx_eq_u32_e64 v0, v56
	s_cbranch_execz .LBB7_229
; %bb.226:                              ;   in Loop: Header=BB7_15 Depth=1
	v_lshlrev_b32_e32 v0, 3, v6
	v_readlane_b32 s30, v77, 26
	v_readlane_b32 s31, v77, 27
	v_readlane_b32 s28, v77, 24
	v_readlane_b32 s29, v77, 25
	scratch_load_b64 v[0:1], v0, off offset:38992
	s_mov_b32 s27, s31
	s_wait_alu 0xfffe
	v_writelane_b32 v77, s26, 26
	s_mov_b32 s30, s29
	v_writelane_b32 v77, s27, 27
	s_mov_b32 s27, exec_lo
	s_wait_loadcnt 0x0
	s_wait_alu 0xfffe
	v_cmpx_gt_u64_e64 s[30:31], v[0:1]
; %bb.227:                              ;   in Loop: Header=BB7_15 Depth=1
	v_lshrrev_b32_e32 v3, 1, v0
	v_and_b32_e32 v0, 1, v0
	s_delay_alu instid0(VALU_DEP_2) | instskip(NEXT) | instid1(VALU_DEP_2)
	v_cmp_eq_u32_e32 vcc_lo, v3, v1
	v_cmp_eq_u32_e64 s0, v0, v1
	s_and_b32 s0, vcc_lo, s0
	s_wait_alu 0xfffe
	s_and_b32 s0, s0, exec_lo
; %bb.228:                              ;   in Loop: Header=BB7_15 Depth=1
	s_or_b32 exec_lo, exec_lo, s27
	v_cmp_lt_i32_e32 vcc_lo, v44, v45
	s_wait_alu 0xfffe
	s_or_b32 s0, s0, vcc_lo
	s_wait_alu 0xfffe
	s_and_b32 s0, s0, exec_lo
.LBB7_229:                              ;   in Loop: Header=BB7_15 Depth=1
	s_wait_alu 0xfffe
	s_or_b32 exec_lo, exec_lo, s26
	s_delay_alu instid0(SALU_CYCLE_1)
	s_or_not1_b32 s0, s0, exec_lo
.LBB7_230:                              ;   in Loop: Header=BB7_15 Depth=1
	s_wait_alu 0xfffe
	s_or_b32 exec_lo, exec_lo, s25
	s_and_saveexec_b32 s25, s0
; %bb.231:                              ;   in Loop: Header=BB7_15 Depth=1
	v_mov_b32_e32 v2, 1
; %bb.232:                              ;   in Loop: Header=BB7_15 Depth=1
	s_wait_alu 0xfffe
	s_or_b32 exec_lo, exec_lo, s25
	s_delay_alu instid0(VALU_DEP_1)
	v_mov_b32_e32 v1, v2
.LBB7_233:                              ;   in Loop: Header=BB7_15 Depth=1
	s_wait_alu 0xfffe
	s_or_b32 exec_lo, exec_lo, s24
	s_delay_alu instid0(VALU_DEP_1)
	v_mov_b32_e32 v2, v1
.LBB7_234:                              ;   in Loop: Header=BB7_15 Depth=1
	s_wait_alu 0xfffe
	s_or_b32 exec_lo, exec_lo, s13
	s_mov_b32 s39, 0
	s_mov_b32 s0, s15
	;; [unrolled: 1-line block ×12, first 2 shown]
	s_mov_b32 s13, exec_lo
	v_cmpx_ne_u32_e32 -1, v2
	s_wait_alu 0xfffe
	s_xor_b32 s13, exec_lo, s13
	s_cbranch_execz .LBB7_254
; %bb.235:                              ;   in Loop: Header=BB7_15 Depth=1
	s_clause 0x1
	scratch_load_b32 v0, off, off offset:36936
	scratch_load_b32 v1, off, off offset:38992
	v_cmp_eq_u32_e32 vcc_lo, 0, v2
	v_readlane_b32 s24, v77, 7
	v_readlane_b32 s30, v77, 13
	;; [unrolled: 1-line block ×7, first 2 shown]
	s_mov_b32 s25, -1
	s_mov_b32 s26, 0
	s_mov_b32 s27, 0
	;; [unrolled: 1-line block ×3, first 2 shown]
	s_mov_b32 s24, exec_lo
	v_readlane_b32 s29, v77, 12
	s_wait_loadcnt 0x0
	s_wait_alu 0xfffd
	v_cndmask_b32_e32 v5, v1, v0, vcc_lo
	s_wait_alu 0xf1ff
	v_add_co_u32 v0, s0, s30, v88
	s_wait_alu 0xf1ff
	v_add_co_ci_u32_e64 v1, null, s31, v89, s0
	v_sub_nc_u32_e32 v2, v5, v40
	global_store_b32 v[0:1], v2, off
	v_cmpx_lt_i32_e32 0, v2
	s_cbranch_execz .LBB7_253
; %bb.236:                              ;   in Loop: Header=BB7_15 Depth=1
	v_readlane_b32 s44, v77, 7
	v_readlane_b32 s48, v77, 11
	;; [unrolled: 1-line block ×3, first 2 shown]
	s_mov_b32 s26, -1
	s_mov_b32 s29, 0
	s_mov_b32 s30, 0
	s_wait_alu 0xf1ff
	v_add_co_u32 v0, s0, s48, v88
	s_wait_alu 0xf1ff
	v_add_co_ci_u32_e64 v1, null, s49, v89, s0
	s_mov_b32 s31, 0
	s_mov_b32 s25, exec_lo
	v_readlane_b32 s45, v77, 8
	global_load_b32 v2, v[0:1], off
	v_readlane_b32 s46, v77, 9
	v_readlane_b32 s47, v77, 10
	;; [unrolled: 1-line block ×4, first 2 shown]
	s_wait_loadcnt 0x0
	v_cmpx_eq_u32_e32 -1, v2
	s_cbranch_execz .LBB7_252
; %bb.237:                              ;   in Loop: Header=BB7_15 Depth=1
	s_mov_b32 s27, -1
	s_mov_b32 s29, -1
	s_mov_b32 s26, exec_lo
	global_store_b32 v[0:1], v61, off
	v_cmpx_gt_i32_e64 v5, v40
	s_cbranch_execz .LBB7_251
; %bb.238:                              ;   in Loop: Header=BB7_15 Depth=1
	v_readlane_b32 s0, v77, 22
                                        ; implicit-def: $sgpr28
                                        ; implicit-def: $sgpr29
                                        ; implicit-def: $sgpr27
                                        ; implicit-def: $sgpr30
                                        ; implicit-def: $sgpr31
	s_wait_alu 0xf1ff
	s_delay_alu instid0(VALU_DEP_1) | instskip(SKIP_1) | instid1(VALU_DEP_1)
	v_dual_mov_b32 v1, 0 :: v_dual_cndmask_b32 v0, s0, v43
	s_mov_b32 s0, 0
	v_lshl_add_u32 v6, v40, 3, v0
	v_mov_b32_e32 v0, v62
	s_branch .LBB7_240
.LBB7_239:                              ;   in Loop: Header=BB7_240 Depth=2
	s_wait_alu 0xfffe
	s_or_b32 exec_lo, exec_lo, s34
	s_xor_b32 s34, s36, -1
	s_and_b32 s33, exec_lo, s33
	s_wait_alu 0xfffe
	s_or_b32 s0, s33, s0
	s_and_not1_b32 s27, s27, exec_lo
	s_and_b32 s33, s34, exec_lo
	s_and_not1_b32 s29, s29, exec_lo
	s_wait_alu 0xfffe
	s_or_b32 s27, s27, s33
	s_and_b32 s33, s31, exec_lo
	s_and_not1_b32 s28, s28, exec_lo
	s_and_b32 s34, s30, exec_lo
	s_wait_alu 0xfffe
	s_or_b32 s29, s29, s33
	s_or_b32 s28, s28, s34
	s_and_not1_b32 exec_lo, exec_lo, s0
	s_cbranch_execz .LBB7_250
.LBB7_240:                              ;   Parent Loop BB7_15 Depth=1
                                        ; =>  This Inner Loop Header: Depth=2
	s_mov_b32 s33, -1
	s_mov_b32 s35, -1
	s_mov_b32 s34, exec_lo
	v_cmpx_eq_u32_e32 8, v1
	s_cbranch_execz .LBB7_248
; %bb.241:                              ;   in Loop: Header=BB7_240 Depth=2
	s_mov_b32 s36, exec_lo
	s_mov_b32 s35, exec_lo
	s_wait_alu 0xfffe
	v_mbcnt_lo_u32_b32 v1, s36, 0
                                        ; implicit-def: $vgpr2
	s_delay_alu instid0(VALU_DEP_1)
	v_cmpx_eq_u32_e32 0, v1
	s_cbranch_execz .LBB7_243
; %bb.242:                              ;   in Loop: Header=BB7_240 Depth=2
	s_bcnt1_i32_b32 s36, s36
	s_wait_alu 0xfffe
	v_mov_b32_e32 v2, s36
	v_readlane_b32 s36, v77, 17
	v_readlane_b32 s37, v77, 18
	;; [unrolled: 1-line block ×4, first 2 shown]
	global_atomic_add_u32 v2, v61, v2, s[36:37] th:TH_ATOMIC_RETURN scope:SCOPE_DEV
.LBB7_243:                              ;   in Loop: Header=BB7_240 Depth=2
	s_or_b32 exec_lo, exec_lo, s35
	s_wait_loadcnt 0x0
	v_readfirstlane_b32 s35, v2
	s_mov_b32 s36, 0
	s_mov_b32 s38, -1
	s_mov_b32 s37, 0
	s_wait_alu 0xf1ff
	v_add_nc_u32_e32 v2, s35, v1
	v_readlane_b32 s35, v77, 28
	s_wait_alu 0xf1ff
	s_delay_alu instid0(VALU_DEP_1)
	v_cmp_gt_i32_e32 vcc_lo, s35, v2
	s_and_saveexec_b32 s35, vcc_lo
	s_cbranch_execz .LBB7_247
; %bb.244:                              ;   in Loop: Header=BB7_240 Depth=2
	v_ashrrev_i32_e32 v3, 31, v2
	v_readlane_b32 s44, v77, 7
	v_readlane_b32 s48, v77, 11
	;; [unrolled: 1-line block ×3, first 2 shown]
	s_mov_b32 s37, exec_lo
	v_lshlrev_b64_e32 v[3:4], 2, v[2:3]
	v_readlane_b32 s45, v77, 8
	v_readlane_b32 s46, v77, 9
	;; [unrolled: 1-line block ×5, first 2 shown]
	s_wait_alu 0xf1ff
	v_add_co_u32 v3, vcc_lo, s48, v3
	s_wait_alu 0xfffd
	v_add_co_ci_u32_e64 v4, null, s49, v4, vcc_lo
	global_load_b32 v1, v[3:4], off
	s_wait_loadcnt 0x0
	v_cmpx_eq_u32_e32 -1, v1
	s_cbranch_execz .LBB7_246
; %bb.245:                              ;   in Loop: Header=BB7_240 Depth=2
	v_ashrrev_i32_e32 v1, 31, v0
	v_readlane_b32 s44, v77, 7
	v_readlane_b32 s48, v77, 11
	v_readlane_b32 s49, v77, 12
	s_mov_b32 s36, exec_lo
	v_lshlrev_b64_e32 v[0:1], 2, v[0:1]
	v_readlane_b32 s45, v77, 8
	v_readlane_b32 s46, v77, 9
	;; [unrolled: 1-line block ×5, first 2 shown]
	s_wait_alu 0xf1ff
	v_add_co_u32 v0, vcc_lo, s48, v0
	s_wait_alu 0xfffd
	v_add_co_ci_u32_e64 v1, null, s49, v1, vcc_lo
	s_clause 0x1
	global_store_b32 v[0:1], v2, off
	global_store_b32 v[3:4], v61, off
.LBB7_246:                              ;   in Loop: Header=BB7_240 Depth=2
	s_wait_alu 0xfffe
	s_or_b32 exec_lo, exec_lo, s37
	s_delay_alu instid0(SALU_CYCLE_1)
	s_mov_b32 s37, exec_lo
	s_xor_b32 s38, exec_lo, -1
	s_and_b32 s36, s36, exec_lo
.LBB7_247:                              ;   in Loop: Header=BB7_240 Depth=2
	s_wait_alu 0xfffe
	s_or_b32 exec_lo, exec_lo, s35
	v_dual_mov_b32 v1, 0 :: v_dual_mov_b32 v0, v2
	s_and_not1_b32 s31, s31, exec_lo
	s_and_b32 s35, s38, exec_lo
	s_and_not1_b32 s30, s30, exec_lo
	s_and_b32 s37, s37, exec_lo
	s_wait_alu 0xfffe
	s_or_b32 s31, s31, s35
	s_or_b32 s30, s30, s37
	s_or_not1_b32 s35, s36, exec_lo
.LBB7_248:                              ;   in Loop: Header=BB7_240 Depth=2
	s_wait_alu 0xfffe
	s_or_b32 exec_lo, exec_lo, s34
	s_mov_b32 s36, -1
	s_and_saveexec_b32 s34, s35
	s_cbranch_execz .LBB7_239
; %bb.249:                              ;   in Loop: Header=BB7_240 Depth=2
	scratch_load_b64 v[2:3], v6, off
	v_lshl_add_u32 v7, v0, 3, v1
	v_readlane_b32 s44, v77, 7
	v_readlane_b32 s46, v77, 9
	v_add_nc_u32_e32 v40, 1, v40
	v_readlane_b32 s47, v77, 10
	v_ashrrev_i32_e32 v8, 31, v7
	v_add_nc_u32_e32 v1, 1, v1
	v_add_nc_u32_e32 v6, 8, v6
	s_xor_b32 s36, exec_lo, -1
	v_readlane_b32 s45, v77, 8
	v_lshlrev_b64_e32 v[7:8], 3, v[7:8]
	v_readlane_b32 s48, v77, 11
	v_readlane_b32 s49, v77, 12
	;; [unrolled: 1-line block ×4, first 2 shown]
	s_wait_alu 0xf1ff
	v_add_co_u32 v7, vcc_lo, s46, v7
	s_wait_alu 0xfffd
	v_add_co_ci_u32_e64 v8, null, s47, v8, vcc_lo
	v_cmp_ge_i32_e32 vcc_lo, v40, v5
	s_or_not1_b32 s33, vcc_lo, exec_lo
	s_wait_loadcnt 0x0
	global_store_b64 v[7:8], v[2:3], off
	s_branch .LBB7_239
.LBB7_250:                              ;   in Loop: Header=BB7_15 Depth=1
	s_or_b32 exec_lo, exec_lo, s0
	s_wait_alu 0xfffe
	s_and_b32 s30, s28, exec_lo
	s_and_b32 s28, s29, exec_lo
	s_xor_b32 s29, exec_lo, -1
	s_or_not1_b32 s27, s27, exec_lo
.LBB7_251:                              ;   in Loop: Header=BB7_15 Depth=1
	s_wait_alu 0xfffe
	s_or_b32 exec_lo, exec_lo, s26
	s_delay_alu instid0(SALU_CYCLE_1)
	s_and_b32 s31, s30, exec_lo
	s_and_b32 s30, s28, exec_lo
	s_or_not1_b32 s26, s29, exec_lo
	s_and_b32 s29, s27, exec_lo
.LBB7_252:                              ;   in Loop: Header=BB7_15 Depth=1
	s_wait_alu 0xfffe
	s_or_b32 exec_lo, exec_lo, s25
	s_delay_alu instid0(SALU_CYCLE_1)
	s_and_b32 s28, s31, exec_lo
	s_and_b32 s27, s30, exec_lo
	;; [unrolled: 1-line block ×3, first 2 shown]
	s_xor_b32 s25, exec_lo, -1
	s_and_b32 s39, s29, exec_lo
.LBB7_253:                              ;   in Loop: Header=BB7_15 Depth=1
	s_wait_alu 0xfffe
	s_or_b32 exec_lo, exec_lo, s24
	s_delay_alu instid0(SALU_CYCLE_1)
	s_and_not1_b32 s38, s23, exec_lo
	s_and_b32 s37, s28, exec_lo
	s_and_b32 s36, s27, exec_lo
	s_and_b32 s35, s26, exec_lo
	s_and_b32 s34, s25, exec_lo
	s_and_not1_b32 s33, s20, exec_lo
	s_and_not1_b32 s31, s1, exec_lo
	;; [unrolled: 1-line block ×10, first 2 shown]
	s_and_b32 s39, s39, exec_lo
                                        ; implicit-def: $vgpr88_vgpr89
.LBB7_254:                              ;   in Loop: Header=BB7_15 Depth=1
	s_wait_alu 0xfffe
	s_and_not1_saveexec_b32 s13, s13
	s_cbranch_execz .LBB7_256
; %bb.255:                              ;   in Loop: Header=BB7_15 Depth=1
	v_readlane_b32 s44, v77, 7
	v_readlane_b32 s50, v77, 13
	;; [unrolled: 1-line block ×3, first 2 shown]
	s_or_b32 s39, s39, exec_lo
	v_readlane_b32 s45, v77, 8
	v_readlane_b32 s46, v77, 9
	v_add_co_u32 v0, vcc_lo, s50, v88
	s_wait_alu 0xfffd
	v_add_co_ci_u32_e64 v1, null, s51, v89, vcc_lo
	v_readlane_b32 s47, v77, 10
	v_readlane_b32 s48, v77, 11
	;; [unrolled: 1-line block ×3, first 2 shown]
	global_store_b32 v[0:1], v61, off
.LBB7_256:                              ;   in Loop: Header=BB7_15 Depth=1
	s_wait_alu 0xfffe
	s_or_b32 exec_lo, exec_lo, s13
	s_mov_b32 s13, -1
	s_mov_b32 s40, 0
	s_and_saveexec_b32 s41, s39
	s_cbranch_execz .LBB7_2
; %bb.257:                              ;   in Loop: Header=BB7_15 Depth=1
	v_readlane_b32 s13, v77, 29
	s_mov_b32 s40, exec_lo
	s_and_not1_b32 s38, s38, exec_lo
	s_and_not1_b32 s37, s37, exec_lo
	;; [unrolled: 1-line block ×3, first 2 shown]
	s_wait_alu 0xfffe
	v_add_nc_u32_e32 v62, s13, v62
	v_readlane_b32 s13, v77, 23
	s_and_not1_b32 s35, s35, exec_lo
	s_and_not1_b32 s34, s34, exec_lo
	;; [unrolled: 1-line block ×4, first 2 shown]
	v_cmp_le_i32_e32 vcc_lo, s13, v62
	s_and_not1_b32 s30, s30, exec_lo
	s_and_not1_b32 s29, s29, exec_lo
	;; [unrolled: 1-line block ×8, first 2 shown]
	s_or_not1_b32 s13, vcc_lo, exec_lo
	s_branch .LBB7_2
.LBB7_258:
	s_or_b32 exec_lo, exec_lo, s104
	s_mov_b32 s1, -1
	s_xor_b32 s0, s83, -1
	s_mov_b32 s2, 0
	s_mov_b32 s3, 0
	s_mov_b32 s4, 0
	s_mov_b32 s5, 0
	s_mov_b32 s6, 0
	s_mov_b32 s7, 0
	s_mov_b32 s9, 0
	s_mov_b32 s10, 0
	s_mov_b32 s11, 0
	s_mov_b32 s12, 0
	s_mov_b32 s13, 0
	s_mov_b32 s14, 0
	s_mov_b32 s15, 0
	s_mov_b32 s16, 0
	s_mov_b32 s30, 0
	s_mov_b32 s31, 0
	s_mov_b32 s29, 0
	s_mov_b32 s28, 0
	s_mov_b32 s27, 0
	s_mov_b32 s26, 0
	s_mov_b32 s25, 0
	s_mov_b32 s24, 0
	s_mov_b32 s23, 0
	s_mov_b32 s33, 0
	s_mov_b32 s34, 0
	s_mov_b32 s35, 0
	s_mov_b32 s36, 0
	s_mov_b32 s18, 0
	s_and_saveexec_b32 s17, s87
	v_readlane_b32 s48, v77, 0
	s_cbranch_execz .LBB7_318
; %bb.259:
	s_mov_b32 s3, -1
	s_mov_b32 s8, 0
	s_mov_b32 s19, 0
	;; [unrolled: 1-line block ×5, first 2 shown]
	s_mov_b32 s18, exec_lo
	v_readlane_b32 s1, v76, 29
	s_wait_alu 0xfffe
	s_and_b32 s1, s18, s1
	s_wait_alu 0xfffe
	s_mov_b32 exec_lo, s1
	s_cbranch_execz .LBB7_317
; %bb.260:
	s_mov_b32 s2, -1
	s_mov_b32 s1, 0
	s_mov_b32 s19, exec_lo
	v_readlane_b32 s3, v76, 28
	s_wait_alu 0xfffe
	s_and_b32 s3, s19, s3
	s_wait_alu 0xfffe
	s_mov_b32 exec_lo, s3
	s_cbranch_execz .LBB7_316
; %bb.261:
	s_mov_b32 s3, -1
	s_mov_b32 s20, exec_lo
	v_readlane_b32 s2, v76, 27
	s_wait_alu 0xfffe
	s_and_b32 s2, s20, s2
	s_wait_alu 0xfffe
	s_mov_b32 exec_lo, s2
	s_cbranch_execz .LBB7_315
; %bb.262:
	s_mov_b32 s2, -1
	;; [unrolled: 9-line block ×18, first 2 shown]
	s_mov_b32 s41, exec_lo
	v_readlane_b32 s3, v76, 10
	s_wait_alu 0xfffe
	s_and_b32 s3, s41, s3
	s_wait_alu 0xfffe
	s_mov_b32 exec_lo, s3
	s_cbranch_execz .LBB7_298
; %bb.279:
	s_mov_b32 s31, s42
	s_mov_b32 s3, -1
	s_mov_b32 s42, exec_lo
	v_readlane_b32 s2, v76, 9
	s_wait_alu 0xfffe
	s_and_b32 s2, s42, s2
	s_wait_alu 0xfffe
	s_mov_b32 exec_lo, s2
	s_cbranch_execz .LBB7_297
; %bb.280:
	s_mov_b32 s2, -1
	s_mov_b32 s43, exec_lo
	v_readlane_b32 s3, v76, 8
	s_wait_alu 0xfffe
	s_and_b32 s3, s43, s3
	s_wait_alu 0xfffe
	s_mov_b32 exec_lo, s3
	s_cbranch_execz .LBB7_296
; %bb.281:
	;; [unrolled: 9-line block ×5, first 2 shown]
	s_mov_b32 s2, -1
	s_mov_b32 s3, 0
	s_mov_b32 s47, exec_lo
	v_readlane_b32 s4, v76, 4
	s_wait_alu 0xfffe
	s_and_b32 s4, s47, s4
	s_wait_alu 0xfffe
	s_mov_b32 exec_lo, s4
	s_cbranch_execz .LBB7_292
; %bb.285:
	s_mov_b32 s1, -1
	s_mov_b32 s2, 0
	s_and_saveexec_b32 s3, s31
	s_wait_alu 0xfffe
	s_xor_b32 s48, exec_lo, s3
	s_cbranch_execz .LBB7_291
; %bb.286:
	s_and_saveexec_b32 s1, s0
	s_wait_alu 0xfffe
	s_xor_b32 s49, exec_lo, s1
	s_cbranch_execz .LBB7_288
; %bb.287:
	s_getpc_b64 s[0:1]
	s_wait_alu 0xfffe
	s_sext_i32_i16 s1, s1
	s_add_co_u32 s0, s0, .str.15@rel32@lo+12
	s_wait_alu 0xfffe
	s_add_co_ci_u32 s1, s1, .str.15@rel32@hi+24
	s_getpc_b64 s[2:3]
	s_wait_alu 0xfffe
	s_sext_i32_i16 s3, s3
	s_add_co_u32 s2, s2, .str.16@rel32@lo+12
	s_wait_alu 0xfffe
	s_add_co_ci_u32 s3, s3, .str.16@rel32@hi+24
	s_getpc_b64 s[4:5]
	s_wait_alu 0xfffe
	s_sext_i32_i16 s5, s5
	s_add_co_u32 s4, s4, __PRETTY_FUNCTION__._ZN3sop10minatoIsopEPKjiP7VecsMemIjLi8192EE@rel32@lo+12
	s_wait_alu 0xfffe
	s_add_co_ci_u32 s5, s5, __PRETTY_FUNCTION__._ZN3sop10minatoIsopEPKjiP7VecsMemIjLi8192EE@rel32@hi+24
	v_dual_mov_b32 v0, s0 :: v_dual_mov_b32 v1, s1
	v_dual_mov_b32 v2, s2 :: v_dual_mov_b32 v3, s3
	;; [unrolled: 1-line block ×3, first 2 shown]
	s_wait_loadcnt 0x0
	s_wait_alu 0xfffe
	v_mov_b32_e32 v6, s5
	s_getpc_b64 s[6:7]
	s_wait_alu 0xfffe
	s_sext_i32_i16 s7, s7
	s_add_co_u32 s6, s6, __assert_fail@rel32@lo+12
	s_wait_alu 0xfffe
	s_add_co_ci_u32 s7, s7, __assert_fail@rel32@hi+24
	s_mov_b64 s[8:9], s[84:85]
	s_wait_alu 0xfffe
	s_swappc_b64 s[30:31], s[6:7]
.LBB7_288:
	s_wait_alu 0xfffe
	s_and_not1_saveexec_b32 s49, s49
	s_cbranch_execz .LBB7_290
; %bb.289:
	s_getpc_b64 s[0:1]
	s_wait_alu 0xfffe
	s_sext_i32_i16 s1, s1
	s_add_co_u32 s0, s0, .str.15@rel32@lo+12
	s_wait_alu 0xfffe
	s_add_co_ci_u32 s1, s1, .str.15@rel32@hi+24
	s_getpc_b64 s[2:3]
	s_wait_alu 0xfffe
	s_sext_i32_i16 s3, s3
	s_add_co_u32 s2, s2, .str.16@rel32@lo+12
	s_wait_alu 0xfffe
	s_add_co_ci_u32 s3, s3, .str.16@rel32@hi+24
	s_getpc_b64 s[4:5]
	s_wait_alu 0xfffe
	s_sext_i32_i16 s5, s5
	s_add_co_u32 s4, s4, __PRETTY_FUNCTION__._ZN3sop10minatoIsopEPKjiP7VecsMemIjLi8192EE@rel32@lo+12
	s_wait_alu 0xfffe
	s_add_co_ci_u32 s5, s5, __PRETTY_FUNCTION__._ZN3sop10minatoIsopEPKjiP7VecsMemIjLi8192EE@rel32@hi+24
	v_dual_mov_b32 v0, s0 :: v_dual_mov_b32 v1, s1
	v_dual_mov_b32 v2, s2 :: v_dual_mov_b32 v3, s3
	;; [unrolled: 1-line block ×3, first 2 shown]
	s_wait_loadcnt 0x0
	s_wait_alu 0xfffe
	v_mov_b32_e32 v6, s5
	s_getpc_b64 s[6:7]
	s_wait_alu 0xfffe
	s_sext_i32_i16 s7, s7
	s_add_co_u32 s6, s6, __assert_fail@rel32@lo+12
	s_wait_alu 0xfffe
	s_add_co_ci_u32 s7, s7, __assert_fail@rel32@hi+24
	s_mov_b64 s[8:9], s[84:85]
	s_wait_alu 0xfffe
	s_swappc_b64 s[30:31], s[6:7]
.LBB7_290:
	s_wait_alu 0xfffe
	s_or_b32 exec_lo, exec_lo, s49
	s_delay_alu instid0(SALU_CYCLE_1)
	s_mov_b32 s2, exec_lo
	s_xor_b32 s1, exec_lo, -1
.LBB7_291:
	s_wait_alu 0xfffe
	s_or_b32 exec_lo, exec_lo, s48
	s_delay_alu instid0(SALU_CYCLE_1)
	s_and_b32 s3, s2, exec_lo
	s_xor_b32 s2, exec_lo, -1
	s_and_b32 s1, s1, exec_lo
.LBB7_292:
	s_or_b32 exec_lo, exec_lo, s47
	s_wait_alu 0xfffe
	s_and_b32 s4, s3, exec_lo
	s_xor_b32 s3, exec_lo, -1
	s_and_b32 s6, s2, exec_lo
	s_and_b32 s1, s1, exec_lo
.LBB7_293:
	s_or_b32 exec_lo, exec_lo, s46
	s_wait_alu 0xfffe
	s_and_b32 s5, s4, exec_lo
	s_xor_b32 s2, exec_lo, -1
	s_and_b32 s4, s3, exec_lo
	s_and_b32 s6, s6, exec_lo
	;; [unrolled: 1-line block ×3, first 2 shown]
.LBB7_294:
	s_or_b32 exec_lo, exec_lo, s45
	s_wait_alu 0xfffe
	s_and_b32 s8, s5, exec_lo
	s_xor_b32 s3, exec_lo, -1
	s_and_b32 s5, s2, exec_lo
	s_and_b32 s4, s4, exec_lo
	;; [unrolled: 1-line block ×4, first 2 shown]
.LBB7_295:
	s_or_b32 exec_lo, exec_lo, s44
	s_wait_alu 0xfffe
	s_and_b32 s9, s8, exec_lo
	s_xor_b32 s2, exec_lo, -1
	s_and_b32 s6, s3, exec_lo
	s_and_b32 s5, s5, exec_lo
	;; [unrolled: 1-line block ×5, first 2 shown]
.LBB7_296:
	s_or_b32 exec_lo, exec_lo, s43
	s_wait_alu 0xfffe
	s_and_b32 s9, s9, exec_lo
	s_xor_b32 s3, exec_lo, -1
	s_and_b32 s7, s2, exec_lo
	s_and_b32 s6, s6, exec_lo
	;; [unrolled: 1-line block ×6, first 2 shown]
.LBB7_297:
	s_or_b32 exec_lo, exec_lo, s42
	s_wait_alu 0xfffe
	s_and_b32 s10, s9, exec_lo
	s_xor_b32 s2, exec_lo, -1
	s_and_b32 s9, s3, exec_lo
	s_and_b32 s7, s7, exec_lo
	s_and_b32 s6, s6, exec_lo
	s_and_b32 s5, s5, exec_lo
	s_and_b32 s4, s4, exec_lo
	s_and_b32 s8, s8, exec_lo
	s_and_b32 s1, s1, exec_lo
.LBB7_298:
	s_or_b32 exec_lo, exec_lo, s41
	s_wait_alu 0xfffe
	s_and_b32 s11, s10, exec_lo
	s_xor_b32 s3, exec_lo, -1
	s_and_b32 s10, s2, exec_lo
	s_and_b32 s9, s9, exec_lo
	;; [unrolled: 1-line block ×8, first 2 shown]
.LBB7_299:
	s_or_b32 exec_lo, exec_lo, s40
	s_wait_alu 0xfffe
	s_and_b32 s12, s11, exec_lo
	s_xor_b32 s2, exec_lo, -1
	s_and_b32 s11, s3, exec_lo
	s_and_b32 s10, s10, exec_lo
	;; [unrolled: 1-line block ×9, first 2 shown]
.LBB7_300:
	s_or_b32 exec_lo, exec_lo, s39
	s_wait_alu 0xfffe
	s_and_b32 s13, s12, exec_lo
	s_xor_b32 s3, exec_lo, -1
	s_and_b32 s12, s2, exec_lo
	s_and_b32 s11, s11, exec_lo
	;; [unrolled: 1-line block ×10, first 2 shown]
.LBB7_301:
	s_or_b32 exec_lo, exec_lo, s38
	s_wait_alu 0xfffe
	s_and_b32 s14, s13, exec_lo
	s_xor_b32 s2, exec_lo, -1
	s_and_b32 s13, s3, exec_lo
	s_and_b32 s12, s12, exec_lo
	s_and_b32 s11, s11, exec_lo
	s_and_b32 s10, s10, exec_lo
	s_and_b32 s9, s9, exec_lo
	s_and_b32 s7, s7, exec_lo
	s_and_b32 s6, s6, exec_lo
	s_and_b32 s5, s5, exec_lo
	s_and_b32 s4, s4, exec_lo
	s_and_b32 s8, s8, exec_lo
	s_and_b32 s1, s1, exec_lo
.LBB7_302:
	s_or_b32 exec_lo, exec_lo, s37
	s_wait_alu 0xfffe
	s_and_b32 s15, s14, exec_lo
	s_xor_b32 s3, exec_lo, -1
	s_and_b32 s14, s2, exec_lo
	s_and_b32 s13, s13, exec_lo
	;; [unrolled: 1-line block ×12, first 2 shown]
.LBB7_303:
	s_or_b32 exec_lo, exec_lo, s36
	s_wait_alu 0xfffe
	s_and_b32 s16, s15, exec_lo
	s_xor_b32 s2, exec_lo, -1
	s_and_b32 s15, s3, exec_lo
	s_and_b32 s14, s14, exec_lo
	;; [unrolled: 1-line block ×13, first 2 shown]
.LBB7_304:
	s_or_b32 exec_lo, exec_lo, s35
	s_wait_alu 0xfffe
	s_and_b32 s30, s16, exec_lo
	s_xor_b32 s3, exec_lo, -1
	s_and_b32 s16, s2, exec_lo
	s_and_b32 s15, s15, exec_lo
	;; [unrolled: 1-line block ×14, first 2 shown]
.LBB7_305:
	s_or_b32 exec_lo, exec_lo, s34
	v_readlane_b32 s48, v77, 0
	s_wait_alu 0xfffe
	s_and_b32 s30, s30, exec_lo
	s_xor_b32 s2, exec_lo, -1
	s_and_b32 s33, s3, exec_lo
	s_and_b32 s16, s16, exec_lo
	;; [unrolled: 1-line block ×15, first 2 shown]
.LBB7_306:
	s_or_b32 exec_lo, exec_lo, s29
	s_wait_alu 0xfffe
	s_and_b32 s31, s30, exec_lo
	s_xor_b32 s3, exec_lo, -1
	s_and_b32 s30, s2, exec_lo
	s_and_b32 s29, s33, exec_lo
	;; [unrolled: 1-line block ×16, first 2 shown]
.LBB7_307:
	s_or_b32 exec_lo, exec_lo, s28
	s_wait_alu 0xfffe
	s_and_b32 s33, s31, exec_lo
	s_xor_b32 s2, exec_lo, -1
	s_and_b32 s28, s3, exec_lo
	s_and_b32 s30, s30, exec_lo
	;; [unrolled: 1-line block ×17, first 2 shown]
.LBB7_308:
	s_or_b32 exec_lo, exec_lo, s27
	s_wait_alu 0xfffe
	s_and_b32 s27, s33, exec_lo
	s_xor_b32 s3, exec_lo, -1
	s_and_b32 s29, s2, exec_lo
	s_and_b32 s28, s28, exec_lo
	;; [unrolled: 1-line block ×18, first 2 shown]
.LBB7_309:
	s_or_b32 exec_lo, exec_lo, s26
	s_wait_alu 0xfffe
	s_and_b32 s26, s27, exec_lo
	s_xor_b32 s2, exec_lo, -1
	s_and_b32 s27, s3, exec_lo
	s_and_b32 s29, s29, exec_lo
	;; [unrolled: 1-line block ×19, first 2 shown]
.LBB7_310:
	s_or_b32 exec_lo, exec_lo, s25
	s_wait_alu 0xfffe
	s_and_b32 s33, s26, exec_lo
	s_xor_b32 s3, exec_lo, -1
	s_and_b32 s26, s2, exec_lo
	s_and_b32 s27, s27, exec_lo
	;; [unrolled: 1-line block ×20, first 2 shown]
.LBB7_311:
	s_or_b32 exec_lo, exec_lo, s24
	s_wait_alu 0xfffe
	s_and_b32 s31, s33, exec_lo
	s_xor_b32 s2, exec_lo, -1
	s_and_b32 s33, s3, exec_lo
	s_and_b32 s26, s26, exec_lo
	;; [unrolled: 1-line block ×21, first 2 shown]
.LBB7_312:
	s_or_b32 exec_lo, exec_lo, s23
	s_wait_alu 0xfffe
	s_and_b32 s31, s31, exec_lo
	s_xor_b32 s3, exec_lo, -1
	s_and_b32 s30, s2, exec_lo
	s_and_b32 s33, s33, exec_lo
	s_and_b32 s26, s26, exec_lo
	s_and_b32 s27, s27, exec_lo
	s_and_b32 s29, s29, exec_lo
	s_and_b32 s28, s28, exec_lo
	s_and_b32 s24, s24, exec_lo
	s_and_b32 s23, s25, exec_lo
	s_and_b32 s16, s16, exec_lo
	s_and_b32 s15, s15, exec_lo
	s_and_b32 s14, s14, exec_lo
	s_and_b32 s13, s13, exec_lo
	s_and_b32 s12, s12, exec_lo
	s_and_b32 s11, s11, exec_lo
	s_and_b32 s10, s10, exec_lo
	s_and_b32 s9, s9, exec_lo
	s_and_b32 s7, s7, exec_lo
	s_and_b32 s6, s6, exec_lo
	s_and_b32 s5, s5, exec_lo
	s_and_b32 s4, s4, exec_lo
	s_and_b32 s8, s8, exec_lo
	s_and_b32 s1, s1, exec_lo
.LBB7_313:
	s_or_b32 exec_lo, exec_lo, s22
	s_wait_alu 0xfffe
	s_and_b32 s34, s31, exec_lo
	s_xor_b32 s2, exec_lo, -1
	s_and_b32 s31, s3, exec_lo
	s_and_b32 s30, s30, exec_lo
	;; [unrolled: 1-line block ×23, first 2 shown]
.LBB7_314:
	s_or_b32 exec_lo, exec_lo, s21
	s_wait_alu 0xfffe
	s_and_b32 s34, s34, exec_lo
	s_xor_b32 s3, exec_lo, -1
	s_and_b32 s29, s2, exec_lo
	s_and_b32 s33, s31, exec_lo
	;; [unrolled: 1-line block ×24, first 2 shown]
.LBB7_315:
	s_or_b32 exec_lo, exec_lo, s20
	s_wait_alu 0xfffe
	s_and_b32 s34, s34, exec_lo
	s_xor_b32 s2, exec_lo, -1
	s_and_b32 s30, s3, exec_lo
	s_and_b32 s29, s29, exec_lo
	;; [unrolled: 1-line block ×25, first 2 shown]
.LBB7_316:
	s_or_b32 exec_lo, exec_lo, s19
	s_wait_alu 0xfffe
	s_and_b32 s34, s34, exec_lo
	s_xor_b32 s3, exec_lo, -1
	s_and_b32 s31, s2, exec_lo
	s_and_b32 s30, s30, exec_lo
	;; [unrolled: 1-line block ×26, first 2 shown]
.LBB7_317:
	s_or_b32 exec_lo, exec_lo, s18
	s_wait_alu 0xfffe
	s_and_b32 s18, s34, exec_lo
	s_xor_b32 s1, exec_lo, -1
	s_and_b32 s36, s3, exec_lo
	s_and_b32 s35, s31, exec_lo
	s_and_b32 s34, s30, exec_lo
	s_and_b32 s33, s29, exec_lo
	s_and_b32 s23, s28, exec_lo
	s_and_b32 s24, s24, exec_lo
	s_and_b32 s25, s25, exec_lo
	s_and_b32 s26, s26, exec_lo
	s_and_b32 s27, s27, exec_lo
	s_and_b32 s28, s22, exec_lo
	s_and_b32 s29, s21, exec_lo
	s_and_b32 s31, s20, exec_lo
	s_and_b32 s30, s19, exec_lo
	s_and_b32 s16, s16, exec_lo
	s_and_b32 s15, s15, exec_lo
	s_and_b32 s14, s14, exec_lo
	s_and_b32 s13, s13, exec_lo
	s_and_b32 s12, s12, exec_lo
	s_and_b32 s11, s11, exec_lo
	s_and_b32 s10, s10, exec_lo
	s_and_b32 s9, s9, exec_lo
	s_and_b32 s7, s7, exec_lo
	s_and_b32 s6, s6, exec_lo
	s_and_b32 s5, s5, exec_lo
	s_and_b32 s4, s4, exec_lo
	s_and_b32 s3, s8, exec_lo
	s_and_b32 s2, s2, exec_lo
.LBB7_318:
	s_wait_alu 0xfffe
	s_or_b32 exec_lo, exec_lo, s17
	s_delay_alu instid0(SALU_CYCLE_1)
	s_and_b32 s17, s18, exec_lo
	s_and_b32 s18, s1, exec_lo
	;; [unrolled: 1-line block ×28, first 2 shown]
	s_or_not1_b32 s2, s2, exec_lo
.LBB7_319:
	s_or_b32 exec_lo, exec_lo, s48
	s_wait_alu 0xfffe
	s_and_saveexec_b32 s0, s2
	s_wait_alu 0xfffe
	s_or_b32 exec_lo, exec_lo, s0
	s_and_saveexec_b32 s0, s3
	s_wait_alu 0xfffe
	s_xor_b32 s48, exec_lo, s0
	s_cbranch_execnz .LBB7_353
; %bb.320:
	s_wait_alu 0xfffe
	s_or_b32 exec_lo, exec_lo, s48
	s_and_saveexec_b32 s0, s47
	s_wait_alu 0xfffe
	s_xor_b32 s47, exec_lo, s0
	s_cbranch_execnz .LBB7_354
.LBB7_321:
	s_wait_alu 0xfffe
	s_or_b32 exec_lo, exec_lo, s47
	s_and_saveexec_b32 s0, s46
	s_wait_alu 0xfffe
	s_xor_b32 s46, exec_lo, s0
	s_cbranch_execnz .LBB7_355
.LBB7_322:
	s_wait_alu 0xfffe
	s_or_b32 exec_lo, exec_lo, s46
	s_and_saveexec_b32 s0, s45
	s_wait_alu 0xfffe
	s_xor_b32 s45, exec_lo, s0
	s_cbranch_execnz .LBB7_356
.LBB7_323:
	s_wait_alu 0xfffe
	s_or_b32 exec_lo, exec_lo, s45
	s_and_saveexec_b32 s0, s44
	s_wait_alu 0xfffe
	s_xor_b32 s44, exec_lo, s0
	s_cbranch_execnz .LBB7_357
.LBB7_324:
	s_wait_alu 0xfffe
	s_or_b32 exec_lo, exec_lo, s44
	s_and_saveexec_b32 s0, s43
	s_wait_alu 0xfffe
	s_xor_b32 s43, exec_lo, s0
	s_cbranch_execnz .LBB7_358
.LBB7_325:
	s_wait_alu 0xfffe
	s_or_b32 exec_lo, exec_lo, s43
	s_and_saveexec_b32 s0, s42
	s_wait_alu 0xfffe
	s_xor_b32 s42, exec_lo, s0
	s_cbranch_execnz .LBB7_359
.LBB7_326:
	s_wait_alu 0xfffe
	s_or_b32 exec_lo, exec_lo, s42
	s_and_saveexec_b32 s42, s41
	s_cbranch_execnz .LBB7_360
.LBB7_327:
	s_wait_alu 0xfffe
	s_or_b32 exec_lo, exec_lo, s42
	s_and_saveexec_b32 s0, s39
	s_wait_alu 0xfffe
	s_xor_b32 s39, exec_lo, s0
	s_cbranch_execnz .LBB7_361
.LBB7_328:
	s_wait_alu 0xfffe
	s_or_b32 exec_lo, exec_lo, s39
	s_and_saveexec_b32 s39, s40
	s_cbranch_execnz .LBB7_362
.LBB7_329:
	s_wait_alu 0xfffe
	s_or_b32 exec_lo, exec_lo, s39
	s_and_saveexec_b32 s0, s38
	s_wait_alu 0xfffe
	s_xor_b32 s38, exec_lo, s0
	s_cbranch_execnz .LBB7_706
.LBB7_330:
	s_wait_alu 0xfffe
	s_or_b32 exec_lo, exec_lo, s38
	s_and_saveexec_b32 s0, s37
	s_wait_alu 0xfffe
	s_xor_b32 s37, exec_lo, s0
	s_cbranch_execnz .LBB7_707
.LBB7_331:
	s_wait_alu 0xfffe
	s_or_b32 exec_lo, exec_lo, s37
	s_and_saveexec_b32 s0, s36
	s_wait_alu 0xfffe
	s_xor_b32 s36, exec_lo, s0
	s_cbranch_execz .LBB7_333
.LBB7_332:
	s_getpc_b64 s[0:1]
	s_wait_alu 0xfffe
	s_sext_i32_i16 s1, s1
	s_add_co_u32 s0, s0, .str.17@rel32@lo+12
	s_wait_alu 0xfffe
	s_add_co_ci_u32 s1, s1, .str.17@rel32@hi+24
	s_getpc_b64 s[2:3]
	s_wait_alu 0xfffe
	s_sext_i32_i16 s3, s3
	s_add_co_u32 s2, s2, .str.16@rel32@lo+12
	s_wait_alu 0xfffe
	s_add_co_ci_u32 s3, s3, .str.16@rel32@hi+24
	s_getpc_b64 s[4:5]
	s_wait_alu 0xfffe
	s_sext_i32_i16 s5, s5
	s_add_co_u32 s4, s4, __PRETTY_FUNCTION__._ZN3sop10minatoIsopEPKjiP7VecsMemIjLi8192EE@rel32@lo+12
	s_wait_alu 0xfffe
	s_add_co_ci_u32 s5, s5, __PRETTY_FUNCTION__._ZN3sop10minatoIsopEPKjiP7VecsMemIjLi8192EE@rel32@hi+24
	v_dual_mov_b32 v0, s0 :: v_dual_mov_b32 v1, s1
	v_dual_mov_b32 v2, s2 :: v_dual_mov_b32 v3, s3
	;; [unrolled: 1-line block ×3, first 2 shown]
	s_wait_loadcnt 0x0
	s_wait_alu 0xfffe
	v_mov_b32_e32 v6, s5
	s_getpc_b64 s[6:7]
	s_wait_alu 0xfffe
	s_sext_i32_i16 s7, s7
	s_add_co_u32 s6, s6, __assert_fail@rel32@lo+12
	s_wait_alu 0xfffe
	s_add_co_ci_u32 s7, s7, __assert_fail@rel32@hi+24
	s_mov_b64 s[8:9], s[84:85]
	s_wait_alu 0xfffe
	s_swappc_b64 s[30:31], s[6:7]
	s_or_b32 s17, s17, exec_lo
.LBB7_333:
	s_wait_alu 0xfffe
	s_or_b32 exec_lo, exec_lo, s36
	s_and_saveexec_b32 s36, s35
	s_cbranch_execnz .LBB7_384
; %bb.334:
	s_wait_alu 0xfffe
	s_or_b32 exec_lo, exec_lo, s36
	s_and_saveexec_b32 s0, s34
	s_wait_alu 0xfffe
	s_xor_b32 s34, exec_lo, s0
	s_cbranch_execnz .LBB7_737
.LBB7_335:
	s_wait_alu 0xfffe
	s_or_b32 exec_lo, exec_lo, s34
	s_and_saveexec_b32 s0, s29
	s_wait_alu 0xfffe
	s_xor_b32 s29, exec_lo, s0
	s_cbranch_execz .LBB7_337
.LBB7_336:
	s_getpc_b64 s[0:1]
	s_wait_alu 0xfffe
	s_sext_i32_i16 s1, s1
	s_add_co_u32 s0, s0, .str.2@rel32@lo+12
	s_wait_alu 0xfffe
	s_add_co_ci_u32 s1, s1, .str.2@rel32@hi+24
	s_getpc_b64 s[2:3]
	s_wait_alu 0xfffe
	s_sext_i32_i16 s3, s3
	s_add_co_u32 s2, s2, .str.1@rel32@lo+12
	s_wait_alu 0xfffe
	s_add_co_ci_u32 s3, s3, .str.1@rel32@hi+24
	s_getpc_b64 s[4:5]
	s_wait_alu 0xfffe
	s_sext_i32_i16 s5, s5
	s_add_co_u32 s4, s4, __PRETTY_FUNCTION__._Z12evaluateSubgiPiPKiiiiS1_PKyPKjiPKN8subgUtil4SubgILi256EEE@rel32@lo+12
	s_wait_alu 0xfffe
	s_add_co_ci_u32 s5, s5, __PRETTY_FUNCTION__._Z12evaluateSubgiPiPKiiiiS1_PKyPKjiPKN8subgUtil4SubgILi256EEE@rel32@hi+24
	v_dual_mov_b32 v0, s0 :: v_dual_mov_b32 v1, s1
	v_dual_mov_b32 v2, s2 :: v_dual_mov_b32 v3, s3
	;; [unrolled: 1-line block ×3, first 2 shown]
	s_wait_loadcnt 0x0
	s_wait_alu 0xfffe
	v_mov_b32_e32 v6, s5
	s_getpc_b64 s[6:7]
	s_wait_alu 0xfffe
	s_sext_i32_i16 s7, s7
	s_add_co_u32 s6, s6, __assert_fail@rel32@lo+12
	s_wait_alu 0xfffe
	s_add_co_ci_u32 s7, s7, __assert_fail@rel32@hi+24
	s_mov_b64 s[8:9], s[84:85]
	s_wait_alu 0xfffe
	s_swappc_b64 s[30:31], s[6:7]
	s_or_b32 s17, s17, exec_lo
.LBB7_337:
	s_wait_alu 0xfffe
	s_or_b32 exec_lo, exec_lo, s29
	s_and_saveexec_b32 s0, s28
	s_wait_alu 0xfffe
	s_xor_b32 s28, exec_lo, s0
	s_cbranch_execz .LBB7_339
; %bb.338:
	s_getpc_b64 s[0:1]
	s_wait_alu 0xfffe
	s_sext_i32_i16 s1, s1
	s_add_co_u32 s0, s0, .str@rel32@lo+12
	s_wait_alu 0xfffe
	s_add_co_ci_u32 s1, s1, .str@rel32@hi+24
	s_getpc_b64 s[2:3]
	s_wait_alu 0xfffe
	s_sext_i32_i16 s3, s3
	s_add_co_u32 s2, s2, .str.1@rel32@lo+12
	s_wait_alu 0xfffe
	s_add_co_ci_u32 s3, s3, .str.1@rel32@hi+24
	s_getpc_b64 s[4:5]
	s_wait_alu 0xfffe
	s_sext_i32_i16 s5, s5
	s_add_co_u32 s4, s4, __PRETTY_FUNCTION__._Z12evaluateSubgiPiPKiiiiS1_PKyPKjiPKN8subgUtil4SubgILi256EEE@rel32@lo+12
	s_wait_alu 0xfffe
	s_add_co_ci_u32 s5, s5, __PRETTY_FUNCTION__._Z12evaluateSubgiPiPKiiiiS1_PKyPKjiPKN8subgUtil4SubgILi256EEE@rel32@hi+24
	v_dual_mov_b32 v0, s0 :: v_dual_mov_b32 v1, s1
	v_dual_mov_b32 v2, s2 :: v_dual_mov_b32 v3, s3
	;; [unrolled: 1-line block ×3, first 2 shown]
	s_wait_loadcnt 0x0
	s_wait_alu 0xfffe
	v_mov_b32_e32 v6, s5
	s_getpc_b64 s[6:7]
	s_wait_alu 0xfffe
	s_sext_i32_i16 s7, s7
	s_add_co_u32 s6, s6, __assert_fail@rel32@lo+12
	s_wait_alu 0xfffe
	s_add_co_ci_u32 s7, s7, __assert_fail@rel32@hi+24
	s_mov_b64 s[8:9], s[84:85]
	s_wait_alu 0xfffe
	s_swappc_b64 s[30:31], s[6:7]
	s_or_b32 s17, s17, exec_lo
.LBB7_339:
	s_wait_alu 0xfffe
	s_or_b32 exec_lo, exec_lo, s28
	s_and_saveexec_b32 s0, s27
	s_wait_alu 0xfffe
	s_xor_b32 s27, exec_lo, s0
	s_cbranch_execz .LBB7_341
; %bb.340:
	s_getpc_b64 s[0:1]
	s_wait_alu 0xfffe
	s_sext_i32_i16 s1, s1
	s_add_co_u32 s0, s0, .str.46@rel32@lo+12
	s_wait_alu 0xfffe
	s_add_co_ci_u32 s1, s1, .str.46@rel32@hi+24
	s_getpc_b64 s[2:3]
	s_wait_alu 0xfffe
	s_sext_i32_i16 s3, s3
	s_add_co_u32 s2, s2, .str.44@rel32@lo+12
	s_wait_alu 0xfffe
	s_add_co_ci_u32 s3, s3, .str.44@rel32@hi+24
	s_getpc_b64 s[4:5]
	s_wait_alu 0xfffe
	s_sext_i32_i16 s5, s5
	s_add_co_u32 s4, s4, __PRETTY_FUNCTION__._ZN8subgUtil18formAndNodeKeyFlagEiii@rel32@lo+12
	s_wait_alu 0xfffe
	s_add_co_ci_u32 s5, s5, __PRETTY_FUNCTION__._ZN8subgUtil18formAndNodeKeyFlagEiii@rel32@hi+24
	v_dual_mov_b32 v0, s0 :: v_dual_mov_b32 v1, s1
	v_dual_mov_b32 v2, s2 :: v_dual_mov_b32 v3, s3
	;; [unrolled: 1-line block ×3, first 2 shown]
	s_wait_loadcnt 0x0
	s_wait_alu 0xfffe
	v_mov_b32_e32 v6, s5
	s_getpc_b64 s[6:7]
	s_wait_alu 0xfffe
	s_sext_i32_i16 s7, s7
	s_add_co_u32 s6, s6, __assert_fail@rel32@lo+12
	s_wait_alu 0xfffe
	s_add_co_ci_u32 s7, s7, __assert_fail@rel32@hi+24
	s_mov_b64 s[8:9], s[84:85]
	s_wait_alu 0xfffe
	s_swappc_b64 s[30:31], s[6:7]
	s_or_b32 s17, s17, exec_lo
.LBB7_341:
	s_wait_alu 0xfffe
	s_or_b32 exec_lo, exec_lo, s27
	s_and_saveexec_b32 s0, s26
	s_wait_alu 0xfffe
	s_xor_b32 s26, exec_lo, s0
	s_cbranch_execz .LBB7_343
; %bb.342:
	s_getpc_b64 s[0:1]
	s_wait_alu 0xfffe
	s_sext_i32_i16 s1, s1
	s_add_co_u32 s0, s0, .str.32@rel32@lo+12
	s_wait_alu 0xfffe
	s_add_co_ci_u32 s1, s1, .str.32@rel32@hi+24
	s_getpc_b64 s[2:3]
	s_wait_alu 0xfffe
	s_sext_i32_i16 s3, s3
	s_add_co_u32 s2, s2, .str.31@rel32@lo+12
	s_wait_alu 0xfffe
	s_add_co_ci_u32 s3, s3, .str.31@rel32@hi+24
	s_getpc_b64 s[4:5]
	s_wait_alu 0xfffe
	s_sext_i32_i16 s5, s5
	s_add_co_u32 s4, s4, __PRETTY_FUNCTION__._ZN3sop9sopFactorEPjiiPKiiP7VecsMemIjLi8192EEPN8subgUtil4SubgILi256EEE@rel32@lo+12
	s_wait_alu 0xfffe
	s_add_co_ci_u32 s5, s5, __PRETTY_FUNCTION__._ZN3sop9sopFactorEPjiiPKiiP7VecsMemIjLi8192EEPN8subgUtil4SubgILi256EEE@rel32@hi+24
	v_dual_mov_b32 v0, s0 :: v_dual_mov_b32 v1, s1
	v_dual_mov_b32 v2, s2 :: v_dual_mov_b32 v3, s3
	;; [unrolled: 1-line block ×3, first 2 shown]
	s_wait_loadcnt 0x0
	s_wait_alu 0xfffe
	v_mov_b32_e32 v6, s5
	s_getpc_b64 s[6:7]
	s_wait_alu 0xfffe
	s_sext_i32_i16 s7, s7
	s_add_co_u32 s6, s6, __assert_fail@rel32@lo+12
	s_wait_alu 0xfffe
	s_add_co_ci_u32 s7, s7, __assert_fail@rel32@hi+24
	s_mov_b64 s[8:9], s[84:85]
	s_wait_alu 0xfffe
	s_swappc_b64 s[30:31], s[6:7]
	s_or_b32 s17, s17, exec_lo
.LBB7_343:
	s_wait_alu 0xfffe
	s_or_b32 exec_lo, exec_lo, s26
	s_and_saveexec_b32 s26, s25
	s_cbranch_execnz .LBB7_406
; %bb.344:
	s_wait_alu 0xfffe
	s_or_b32 exec_lo, exec_lo, s26
	s_and_saveexec_b32 s0, s24
	s_wait_alu 0xfffe
	s_xor_b32 s24, exec_lo, s0
	s_cbranch_execnz .LBB7_767
.LBB7_345:
	s_wait_alu 0xfffe
	s_or_b32 exec_lo, exec_lo, s24
	s_and_saveexec_b32 s24, s23
	s_cbranch_execnz .LBB7_768
.LBB7_346:
	s_wait_alu 0xfffe
	s_or_b32 exec_lo, exec_lo, s24
	s_and_saveexec_b32 s0, s22
	s_wait_alu 0xfffe
	s_xor_b32 s22, exec_lo, s0
	s_cbranch_execnz .LBB7_769
.LBB7_347:
	s_wait_alu 0xfffe
	s_or_b32 exec_lo, exec_lo, s22
	s_and_saveexec_b32 s0, s21
	s_wait_alu 0xfffe
	s_xor_b32 s21, exec_lo, s0
	s_cbranch_execnz .LBB7_770
.LBB7_348:
	s_wait_alu 0xfffe
	s_or_b32 exec_lo, exec_lo, s21
	s_and_saveexec_b32 s21, s20
	s_cbranch_execnz .LBB7_771
.LBB7_349:
	s_wait_alu 0xfffe
	s_or_b32 exec_lo, exec_lo, s21
	s_and_saveexec_b32 s0, s19
	s_wait_alu 0xfffe
	s_xor_b32 s19, exec_lo, s0
	s_cbranch_execnz .LBB7_905
.LBB7_350:
	s_wait_alu 0xfffe
	s_or_b32 exec_lo, exec_lo, s19
	s_and_saveexec_b32 s19, s18
	s_cbranch_execnz .LBB7_906
.LBB7_351:
	s_wait_alu 0xfffe
	s_or_b32 exec_lo, exec_lo, s19
	s_and_saveexec_b32 s0, s17
	s_cbranch_execnz .LBB7_907
.LBB7_352:
	s_endpgm
.LBB7_353:
	s_getpc_b64 s[0:1]
	s_wait_alu 0xfffe
	s_sext_i32_i16 s1, s1
	s_add_co_u32 s0, s0, .str.11@rel32@lo+12
	s_wait_alu 0xfffe
	s_add_co_ci_u32 s1, s1, .str.11@rel32@hi+24
	s_getpc_b64 s[2:3]
	s_wait_alu 0xfffe
	s_sext_i32_i16 s3, s3
	s_add_co_u32 s2, s2, .str.1@rel32@lo+12
	s_wait_alu 0xfffe
	s_add_co_ci_u32 s3, s3, .str.1@rel32@hi+24
	s_getpc_b64 s[4:5]
	s_wait_alu 0xfffe
	s_sext_i32_i16 s5, s5
	s_add_co_u32 s4, s4, __PRETTY_FUNCTION__._Z8resynCutPKiS0_S0_S0_PKyPKjiS0_PyPiS6_S6_PjS0_S4_ii@rel32@lo+12
	s_wait_alu 0xfffe
	s_add_co_ci_u32 s5, s5, __PRETTY_FUNCTION__._Z8resynCutPKiS0_S0_S0_PKyPKjiS0_PyPiS6_S6_PjS0_S4_ii@rel32@hi+24
	v_dual_mov_b32 v0, s0 :: v_dual_mov_b32 v1, s1
	v_dual_mov_b32 v2, s2 :: v_dual_mov_b32 v3, s3
	;; [unrolled: 1-line block ×3, first 2 shown]
	s_wait_loadcnt 0x0
	s_wait_alu 0xfffe
	v_mov_b32_e32 v6, s5
	s_getpc_b64 s[6:7]
	s_wait_alu 0xfffe
	s_sext_i32_i16 s7, s7
	s_add_co_u32 s6, s6, __assert_fail@rel32@lo+12
	s_wait_alu 0xfffe
	s_add_co_ci_u32 s7, s7, __assert_fail@rel32@hi+24
	s_mov_b64 s[8:9], s[84:85]
	s_wait_alu 0xfffe
	s_swappc_b64 s[30:31], s[6:7]
	s_or_b32 s17, s17, exec_lo
	s_or_b32 exec_lo, exec_lo, s48
	s_and_saveexec_b32 s0, s47
	s_wait_alu 0xfffe
	s_xor_b32 s47, exec_lo, s0
	s_cbranch_execz .LBB7_321
.LBB7_354:
	s_getpc_b64 s[0:1]
	s_wait_alu 0xfffe
	s_sext_i32_i16 s1, s1
	s_add_co_u32 s0, s0, .str.10@rel32@lo+12
	s_wait_alu 0xfffe
	s_add_co_ci_u32 s1, s1, .str.10@rel32@hi+24
	s_getpc_b64 s[2:3]
	s_wait_alu 0xfffe
	s_sext_i32_i16 s3, s3
	s_add_co_u32 s2, s2, .str.1@rel32@lo+12
	s_wait_alu 0xfffe
	s_add_co_ci_u32 s3, s3, .str.1@rel32@hi+24
	s_getpc_b64 s[4:5]
	s_wait_alu 0xfffe
	s_sext_i32_i16 s5, s5
	s_add_co_u32 s4, s4, __PRETTY_FUNCTION__._Z8resynCutPKiS0_S0_S0_PKyPKjiS0_PyPiS6_S6_PjS0_S4_ii@rel32@lo+12
	s_wait_alu 0xfffe
	s_add_co_ci_u32 s5, s5, __PRETTY_FUNCTION__._Z8resynCutPKiS0_S0_S0_PKyPKjiS0_PyPiS6_S6_PjS0_S4_ii@rel32@hi+24
	v_dual_mov_b32 v0, s0 :: v_dual_mov_b32 v1, s1
	v_dual_mov_b32 v2, s2 :: v_dual_mov_b32 v3, s3
	;; [unrolled: 1-line block ×3, first 2 shown]
	s_wait_loadcnt 0x0
	s_wait_alu 0xfffe
	v_mov_b32_e32 v6, s5
	s_getpc_b64 s[6:7]
	s_wait_alu 0xfffe
	s_sext_i32_i16 s7, s7
	s_add_co_u32 s6, s6, __assert_fail@rel32@lo+12
	s_wait_alu 0xfffe
	s_add_co_ci_u32 s7, s7, __assert_fail@rel32@hi+24
	s_mov_b64 s[8:9], s[84:85]
	s_wait_alu 0xfffe
	s_swappc_b64 s[30:31], s[6:7]
	s_or_b32 s17, s17, exec_lo
	s_or_b32 exec_lo, exec_lo, s47
	s_and_saveexec_b32 s0, s46
	s_wait_alu 0xfffe
	s_xor_b32 s46, exec_lo, s0
	s_cbranch_execz .LBB7_322
.LBB7_355:
	s_getpc_b64 s[0:1]
	s_wait_alu 0xfffe
	s_sext_i32_i16 s1, s1
	s_add_co_u32 s0, s0, .str.9@rel32@lo+12
	s_wait_alu 0xfffe
	s_add_co_ci_u32 s1, s1, .str.9@rel32@hi+24
	s_getpc_b64 s[2:3]
	s_wait_alu 0xfffe
	s_sext_i32_i16 s3, s3
	s_add_co_u32 s2, s2, .str.1@rel32@lo+12
	s_wait_alu 0xfffe
	s_add_co_ci_u32 s3, s3, .str.1@rel32@hi+24
	s_getpc_b64 s[4:5]
	s_wait_alu 0xfffe
	s_sext_i32_i16 s5, s5
	s_add_co_u32 s4, s4, __PRETTY_FUNCTION__._Z8resynCutPKiS0_S0_S0_PKyPKjiS0_PyPiS6_S6_PjS0_S4_ii@rel32@lo+12
	s_wait_alu 0xfffe
	s_add_co_ci_u32 s5, s5, __PRETTY_FUNCTION__._Z8resynCutPKiS0_S0_S0_PKyPKjiS0_PyPiS6_S6_PjS0_S4_ii@rel32@hi+24
	v_dual_mov_b32 v0, s0 :: v_dual_mov_b32 v1, s1
	v_dual_mov_b32 v2, s2 :: v_dual_mov_b32 v3, s3
	v_dual_mov_b32 v4, 0xd8 :: v_dual_mov_b32 v5, s4
	s_wait_loadcnt 0x0
	s_wait_alu 0xfffe
	v_mov_b32_e32 v6, s5
	s_getpc_b64 s[6:7]
	s_wait_alu 0xfffe
	s_sext_i32_i16 s7, s7
	s_add_co_u32 s6, s6, __assert_fail@rel32@lo+12
	s_wait_alu 0xfffe
	s_add_co_ci_u32 s7, s7, __assert_fail@rel32@hi+24
	s_mov_b64 s[8:9], s[84:85]
	s_wait_alu 0xfffe
	s_swappc_b64 s[30:31], s[6:7]
	s_or_b32 s17, s17, exec_lo
	s_or_b32 exec_lo, exec_lo, s46
	s_and_saveexec_b32 s0, s45
	s_wait_alu 0xfffe
	s_xor_b32 s45, exec_lo, s0
	s_cbranch_execz .LBB7_323
.LBB7_356:
	s_getpc_b64 s[0:1]
	s_wait_alu 0xfffe
	s_sext_i32_i16 s1, s1
	s_add_co_u32 s0, s0, .str.8@rel32@lo+12
	s_wait_alu 0xfffe
	s_add_co_ci_u32 s1, s1, .str.8@rel32@hi+24
	s_getpc_b64 s[2:3]
	s_wait_alu 0xfffe
	s_sext_i32_i16 s3, s3
	s_add_co_u32 s2, s2, .str.1@rel32@lo+12
	s_wait_alu 0xfffe
	s_add_co_ci_u32 s3, s3, .str.1@rel32@hi+24
	s_getpc_b64 s[4:5]
	s_wait_alu 0xfffe
	s_sext_i32_i16 s5, s5
	s_add_co_u32 s4, s4, __PRETTY_FUNCTION__._Z8resynCutPKiS0_S0_S0_PKyPKjiS0_PyPiS6_S6_PjS0_S4_ii@rel32@lo+12
	s_wait_alu 0xfffe
	s_add_co_ci_u32 s5, s5, __PRETTY_FUNCTION__._Z8resynCutPKiS0_S0_S0_PKyPKjiS0_PyPiS6_S6_PjS0_S4_ii@rel32@hi+24
	v_dual_mov_b32 v0, s0 :: v_dual_mov_b32 v1, s1
	v_dual_mov_b32 v2, s2 :: v_dual_mov_b32 v3, s3
	;; [unrolled: 1-line block ×3, first 2 shown]
	s_wait_loadcnt 0x0
	s_wait_alu 0xfffe
	v_mov_b32_e32 v6, s5
	s_getpc_b64 s[6:7]
	s_wait_alu 0xfffe
	s_sext_i32_i16 s7, s7
	s_add_co_u32 s6, s6, __assert_fail@rel32@lo+12
	s_wait_alu 0xfffe
	s_add_co_ci_u32 s7, s7, __assert_fail@rel32@hi+24
	s_mov_b64 s[8:9], s[84:85]
	s_wait_alu 0xfffe
	s_swappc_b64 s[30:31], s[6:7]
	s_or_b32 s17, s17, exec_lo
	s_or_b32 exec_lo, exec_lo, s45
	s_and_saveexec_b32 s0, s44
	s_wait_alu 0xfffe
	s_xor_b32 s44, exec_lo, s0
	s_cbranch_execz .LBB7_324
.LBB7_357:
	s_getpc_b64 s[0:1]
	s_wait_alu 0xfffe
	s_sext_i32_i16 s1, s1
	s_add_co_u32 s0, s0, .str.2@rel32@lo+12
	s_wait_alu 0xfffe
	s_add_co_ci_u32 s1, s1, .str.2@rel32@hi+24
	s_getpc_b64 s[2:3]
	s_wait_alu 0xfffe
	s_sext_i32_i16 s3, s3
	s_add_co_u32 s2, s2, .str.1@rel32@lo+12
	s_wait_alu 0xfffe
	s_add_co_ci_u32 s3, s3, .str.1@rel32@hi+24
	s_getpc_b64 s[4:5]
	s_wait_alu 0xfffe
	s_sext_i32_i16 s5, s5
	s_add_co_u32 s4, s4, __PRETTY_FUNCTION__._Z12evaluateSubgiPiPKiiiiS1_PKyPKjiPKN8subgUtil4SubgILi256EEE@rel32@lo+12
	s_wait_alu 0xfffe
	s_add_co_ci_u32 s5, s5, __PRETTY_FUNCTION__._Z12evaluateSubgiPiPKiiiiS1_PKyPKjiPKN8subgUtil4SubgILi256EEE@rel32@hi+24
	v_dual_mov_b32 v0, s0 :: v_dual_mov_b32 v1, s1
	v_dual_mov_b32 v2, s2 :: v_dual_mov_b32 v3, s3
	;; [unrolled: 1-line block ×3, first 2 shown]
	s_wait_loadcnt 0x0
	s_wait_alu 0xfffe
	v_mov_b32_e32 v6, s5
	s_getpc_b64 s[6:7]
	s_wait_alu 0xfffe
	s_sext_i32_i16 s7, s7
	s_add_co_u32 s6, s6, __assert_fail@rel32@lo+12
	s_wait_alu 0xfffe
	s_add_co_ci_u32 s7, s7, __assert_fail@rel32@hi+24
	s_mov_b64 s[8:9], s[84:85]
	s_wait_alu 0xfffe
	s_swappc_b64 s[30:31], s[6:7]
	s_or_b32 s17, s17, exec_lo
	s_or_b32 exec_lo, exec_lo, s44
	s_and_saveexec_b32 s0, s43
	s_wait_alu 0xfffe
	s_xor_b32 s43, exec_lo, s0
	s_cbranch_execz .LBB7_325
.LBB7_358:
	s_getpc_b64 s[0:1]
	s_wait_alu 0xfffe
	s_sext_i32_i16 s1, s1
	s_add_co_u32 s0, s0, .str@rel32@lo+12
	s_wait_alu 0xfffe
	s_add_co_ci_u32 s1, s1, .str@rel32@hi+24
	s_getpc_b64 s[2:3]
	s_wait_alu 0xfffe
	s_sext_i32_i16 s3, s3
	s_add_co_u32 s2, s2, .str.1@rel32@lo+12
	s_wait_alu 0xfffe
	s_add_co_ci_u32 s3, s3, .str.1@rel32@hi+24
	s_getpc_b64 s[4:5]
	s_wait_alu 0xfffe
	s_sext_i32_i16 s5, s5
	s_add_co_u32 s4, s4, __PRETTY_FUNCTION__._Z12evaluateSubgiPiPKiiiiS1_PKyPKjiPKN8subgUtil4SubgILi256EEE@rel32@lo+12
	s_wait_alu 0xfffe
	s_add_co_ci_u32 s5, s5, __PRETTY_FUNCTION__._Z12evaluateSubgiPiPKiiiiS1_PKyPKjiPKN8subgUtil4SubgILi256EEE@rel32@hi+24
	v_dual_mov_b32 v0, s0 :: v_dual_mov_b32 v1, s1
	v_dual_mov_b32 v2, s2 :: v_dual_mov_b32 v3, s3
	v_dual_mov_b32 v4, 36 :: v_dual_mov_b32 v5, s4
	s_wait_loadcnt 0x0
	s_wait_alu 0xfffe
	v_mov_b32_e32 v6, s5
	s_getpc_b64 s[6:7]
	s_wait_alu 0xfffe
	s_sext_i32_i16 s7, s7
	s_add_co_u32 s6, s6, __assert_fail@rel32@lo+12
	s_wait_alu 0xfffe
	s_add_co_ci_u32 s7, s7, __assert_fail@rel32@hi+24
	s_mov_b64 s[8:9], s[84:85]
	s_wait_alu 0xfffe
	s_swappc_b64 s[30:31], s[6:7]
	s_or_b32 s17, s17, exec_lo
	s_or_b32 exec_lo, exec_lo, s43
	s_and_saveexec_b32 s0, s42
	s_wait_alu 0xfffe
	s_xor_b32 s42, exec_lo, s0
	s_cbranch_execz .LBB7_326
.LBB7_359:
	s_getpc_b64 s[0:1]
	s_wait_alu 0xfffe
	s_sext_i32_i16 s1, s1
	s_add_co_u32 s0, s0, .str.46@rel32@lo+12
	s_wait_alu 0xfffe
	s_add_co_ci_u32 s1, s1, .str.46@rel32@hi+24
	s_getpc_b64 s[2:3]
	s_wait_alu 0xfffe
	s_sext_i32_i16 s3, s3
	s_add_co_u32 s2, s2, .str.44@rel32@lo+12
	s_wait_alu 0xfffe
	s_add_co_ci_u32 s3, s3, .str.44@rel32@hi+24
	s_getpc_b64 s[4:5]
	s_wait_alu 0xfffe
	s_sext_i32_i16 s5, s5
	s_add_co_u32 s4, s4, __PRETTY_FUNCTION__._ZN8subgUtil18formAndNodeKeyFlagEiii@rel32@lo+12
	s_wait_alu 0xfffe
	s_add_co_ci_u32 s5, s5, __PRETTY_FUNCTION__._ZN8subgUtil18formAndNodeKeyFlagEiii@rel32@hi+24
	v_dual_mov_b32 v0, s0 :: v_dual_mov_b32 v1, s1
	v_dual_mov_b32 v2, s2 :: v_dual_mov_b32 v3, s3
	;; [unrolled: 1-line block ×3, first 2 shown]
	s_wait_loadcnt 0x0
	s_wait_alu 0xfffe
	v_mov_b32_e32 v6, s5
	s_getpc_b64 s[6:7]
	s_wait_alu 0xfffe
	s_sext_i32_i16 s7, s7
	s_add_co_u32 s6, s6, __assert_fail@rel32@lo+12
	s_wait_alu 0xfffe
	s_add_co_ci_u32 s7, s7, __assert_fail@rel32@hi+24
	s_mov_b64 s[8:9], s[84:85]
	s_wait_alu 0xfffe
	s_swappc_b64 s[30:31], s[6:7]
	s_or_b32 s17, s17, exec_lo
	s_or_b32 exec_lo, exec_lo, s42
	s_and_saveexec_b32 s42, s41
	s_cbranch_execz .LBB7_327
.LBB7_360:
	s_getpc_b64 s[0:1]
	s_wait_alu 0xfffe
	s_sext_i32_i16 s1, s1
	s_add_co_u32 s0, s0, .str.32@rel32@lo+12
	s_wait_alu 0xfffe
	s_add_co_ci_u32 s1, s1, .str.32@rel32@hi+24
	s_getpc_b64 s[2:3]
	s_wait_alu 0xfffe
	s_sext_i32_i16 s3, s3
	s_add_co_u32 s2, s2, .str.31@rel32@lo+12
	s_wait_alu 0xfffe
	s_add_co_ci_u32 s3, s3, .str.31@rel32@hi+24
	s_getpc_b64 s[4:5]
	s_wait_alu 0xfffe
	s_sext_i32_i16 s5, s5
	s_add_co_u32 s4, s4, __PRETTY_FUNCTION__._ZN3sop9sopFactorEPjiiPKiiP7VecsMemIjLi8192EEPN8subgUtil4SubgILi256EEE@rel32@lo+12
	s_wait_alu 0xfffe
	s_add_co_ci_u32 s5, s5, __PRETTY_FUNCTION__._ZN3sop9sopFactorEPjiiPKiiP7VecsMemIjLi8192EEPN8subgUtil4SubgILi256EEE@rel32@hi+24
	v_dual_mov_b32 v0, s0 :: v_dual_mov_b32 v1, s1
	v_dual_mov_b32 v2, s2 :: v_dual_mov_b32 v3, s3
	;; [unrolled: 1-line block ×3, first 2 shown]
	s_wait_loadcnt 0x0
	s_wait_alu 0xfffe
	v_mov_b32_e32 v6, s5
	s_getpc_b64 s[6:7]
	s_wait_alu 0xfffe
	s_sext_i32_i16 s7, s7
	s_add_co_u32 s6, s6, __assert_fail@rel32@lo+12
	s_wait_alu 0xfffe
	s_add_co_ci_u32 s7, s7, __assert_fail@rel32@hi+24
	s_mov_b64 s[8:9], s[84:85]
	s_wait_alu 0xfffe
	s_swappc_b64 s[30:31], s[6:7]
	s_or_b32 s17, s17, exec_lo
	s_or_b32 exec_lo, exec_lo, s42
	s_and_saveexec_b32 s0, s39
	s_wait_alu 0xfffe
	s_xor_b32 s39, exec_lo, s0
	s_cbranch_execz .LBB7_328
.LBB7_361:
	s_getpc_b64 s[0:1]
	s_wait_alu 0xfffe
	s_sext_i32_i16 s1, s1
	s_add_co_u32 s0, s0, .str.46@rel32@lo+12
	s_wait_alu 0xfffe
	s_add_co_ci_u32 s1, s1, .str.46@rel32@hi+24
	s_getpc_b64 s[2:3]
	s_wait_alu 0xfffe
	s_sext_i32_i16 s3, s3
	s_add_co_u32 s2, s2, .str.44@rel32@lo+12
	s_wait_alu 0xfffe
	s_add_co_ci_u32 s3, s3, .str.44@rel32@hi+24
	s_getpc_b64 s[4:5]
	s_wait_alu 0xfffe
	s_sext_i32_i16 s5, s5
	s_add_co_u32 s4, s4, __PRETTY_FUNCTION__._ZN8subgUtil18formAndNodeKeyFlagEiii@rel32@lo+12
	s_wait_alu 0xfffe
	s_add_co_ci_u32 s5, s5, __PRETTY_FUNCTION__._ZN8subgUtil18formAndNodeKeyFlagEiii@rel32@hi+24
	v_dual_mov_b32 v0, s0 :: v_dual_mov_b32 v1, s1
	v_dual_mov_b32 v2, s2 :: v_dual_mov_b32 v3, s3
	;; [unrolled: 1-line block ×3, first 2 shown]
	s_wait_loadcnt 0x0
	s_wait_alu 0xfffe
	v_mov_b32_e32 v6, s5
	s_getpc_b64 s[6:7]
	s_wait_alu 0xfffe
	s_sext_i32_i16 s7, s7
	s_add_co_u32 s6, s6, __assert_fail@rel32@lo+12
	s_wait_alu 0xfffe
	s_add_co_ci_u32 s7, s7, __assert_fail@rel32@hi+24
	s_mov_b64 s[8:9], s[84:85]
	s_wait_alu 0xfffe
	s_swappc_b64 s[30:31], s[6:7]
	s_or_b32 s17, s17, exec_lo
	s_or_b32 exec_lo, exec_lo, s39
	s_and_saveexec_b32 s39, s40
	s_cbranch_execz .LBB7_329
.LBB7_362:
	s_load_b64 s[2:3], s[84:85], 0x50
	v_mbcnt_lo_u32_b32 v31, -1, 0
	s_wait_loadcnt 0x0
	v_mov_b32_e32 v6, 0
	v_mov_b32_e32 v7, 0
	s_delay_alu instid0(VALU_DEP_3) | instskip(SKIP_1) | instid1(VALU_DEP_1)
	v_readfirstlane_b32 s0, v31
	s_wait_alu 0xf1ff
	v_cmp_eq_u32_e64 s0, s0, v31
	s_and_saveexec_b32 s1, s0
	s_cbranch_execz .LBB7_368
; %bb.363:
	v_mov_b32_e32 v0, 0
	s_mov_b32 s4, exec_lo
	s_wait_kmcnt 0x0
	global_load_b64 v[3:4], v0, s[2:3] offset:24 scope:SCOPE_SYS
	s_wait_loadcnt 0x0
	global_inv scope:SCOPE_SYS
	s_clause 0x1
	global_load_b64 v[1:2], v0, s[2:3] offset:40
	global_load_b64 v[5:6], v0, s[2:3]
	s_wait_loadcnt 0x1
	v_and_b32_e32 v2, v2, v4
	v_and_b32_e32 v1, v1, v3
	s_delay_alu instid0(VALU_DEP_2) | instskip(NEXT) | instid1(VALU_DEP_2)
	v_mul_lo_u32 v2, 24, v2
	v_mul_lo_u32 v7, 0, v1
	v_mul_hi_u32 v8, 24, v1
	v_mul_lo_u32 v1, 24, v1
	s_delay_alu instid0(VALU_DEP_3) | instskip(SKIP_1) | instid1(VALU_DEP_2)
	v_add_nc_u32_e32 v2, v2, v7
	s_wait_loadcnt 0x0
	v_add_co_u32 v1, vcc_lo, v5, v1
	s_delay_alu instid0(VALU_DEP_2) | instskip(SKIP_1) | instid1(VALU_DEP_1)
	v_add_nc_u32_e32 v2, v2, v8
	s_wait_alu 0xfffd
	v_add_co_ci_u32_e64 v2, null, v6, v2, vcc_lo
	global_load_b64 v[1:2], v[1:2], off scope:SCOPE_SYS
	s_wait_loadcnt 0x0
	global_atomic_cmpswap_b64 v[6:7], v0, v[1:4], s[2:3] offset:24 th:TH_ATOMIC_RETURN scope:SCOPE_SYS
	s_wait_loadcnt 0x0
	global_inv scope:SCOPE_SYS
	v_cmpx_ne_u64_e64 v[6:7], v[3:4]
	s_cbranch_execz .LBB7_367
; %bb.364:
	s_mov_b32 s5, 0
.LBB7_365:                              ; =>This Inner Loop Header: Depth=1
	s_sleep 1
	s_clause 0x1
	global_load_b64 v[1:2], v0, s[2:3] offset:40
	global_load_b64 v[8:9], v0, s[2:3]
	v_dual_mov_b32 v3, v6 :: v_dual_mov_b32 v4, v7
	s_wait_loadcnt 0x1
	s_delay_alu instid0(VALU_DEP_1) | instskip(NEXT) | instid1(VALU_DEP_2)
	v_and_b32_e32 v1, v1, v3
	v_and_b32_e32 v2, v2, v4
	s_wait_loadcnt 0x0
	s_delay_alu instid0(VALU_DEP_2) | instskip(NEXT) | instid1(VALU_DEP_1)
	v_mad_co_u64_u32 v[5:6], null, v1, 24, v[8:9]
	v_mov_b32_e32 v1, v6
	s_delay_alu instid0(VALU_DEP_1) | instskip(NEXT) | instid1(VALU_DEP_1)
	v_mad_co_u64_u32 v[1:2], null, v2, 24, v[1:2]
	v_mov_b32_e32 v6, v1
	global_load_b64 v[1:2], v[5:6], off scope:SCOPE_SYS
	s_wait_loadcnt 0x0
	global_atomic_cmpswap_b64 v[6:7], v0, v[1:4], s[2:3] offset:24 th:TH_ATOMIC_RETURN scope:SCOPE_SYS
	s_wait_loadcnt 0x0
	global_inv scope:SCOPE_SYS
	v_cmp_eq_u64_e32 vcc_lo, v[6:7], v[3:4]
	s_wait_alu 0xfffe
	s_or_b32 s5, vcc_lo, s5
	s_wait_alu 0xfffe
	s_and_not1_b32 exec_lo, exec_lo, s5
	s_cbranch_execnz .LBB7_365
; %bb.366:
	s_or_b32 exec_lo, exec_lo, s5
.LBB7_367:
	s_wait_alu 0xfffe
	s_or_b32 exec_lo, exec_lo, s4
.LBB7_368:
	s_wait_alu 0xfffe
	s_or_b32 exec_lo, exec_lo, s1
	v_readfirstlane_b32 s4, v6
	v_mov_b32_e32 v5, 0
	v_readfirstlane_b32 s5, v7
	s_mov_b32 s1, exec_lo
	s_wait_kmcnt 0x0
	s_clause 0x1
	global_load_b64 v[8:9], v5, s[2:3] offset:40
	global_load_b128 v[0:3], v5, s[2:3]
	s_wait_loadcnt 0x1
	s_wait_alu 0xf1ff
	v_and_b32_e32 v11, s5, v9
	v_and_b32_e32 v10, s4, v8
	s_delay_alu instid0(VALU_DEP_2) | instskip(NEXT) | instid1(VALU_DEP_2)
	v_mul_lo_u32 v4, 24, v11
	v_mul_lo_u32 v6, 0, v10
	v_mul_hi_u32 v7, 24, v10
	v_mul_lo_u32 v8, 24, v10
	s_delay_alu instid0(VALU_DEP_3) | instskip(SKIP_1) | instid1(VALU_DEP_2)
	v_add_nc_u32_e32 v4, v4, v6
	s_wait_loadcnt 0x0
	v_add_co_u32 v8, vcc_lo, v0, v8
	s_delay_alu instid0(VALU_DEP_2) | instskip(SKIP_1) | instid1(VALU_DEP_1)
	v_add_nc_u32_e32 v4, v4, v7
	s_wait_alu 0xfffd
	v_add_co_ci_u32_e64 v9, null, v1, v4, vcc_lo
	s_and_saveexec_b32 s6, s0
	s_cbranch_execz .LBB7_370
; %bb.369:
	s_wait_alu 0xfffe
	v_dual_mov_b32 v4, s1 :: v_dual_mov_b32 v7, 1
	v_mov_b32_e32 v6, 2
	global_store_b128 v[8:9], v[4:7], off offset:8
.LBB7_370:
	s_wait_alu 0xfffe
	s_or_b32 exec_lo, exec_lo, s6
	v_lshlrev_b64_e32 v[10:11], 12, v[10:11]
	v_dual_mov_b32 v7, v5 :: v_dual_lshlrev_b32 v30, 6, v31
	s_mov_b32 s8, 0
	s_wait_alu 0xfffe
	s_mov_b32 s11, s8
	s_delay_alu instid0(VALU_DEP_2)
	v_add_co_u32 v2, vcc_lo, v2, v10
	s_wait_alu 0xfffd
	v_add_co_ci_u32_e64 v3, null, v3, v11, vcc_lo
	s_mov_b32 s9, s8
	v_add_co_u32 v10, vcc_lo, v2, v30
	s_mov_b32 s10, s8
	s_wait_alu 0xfffe
	v_dual_mov_b32 v4, 33 :: v_dual_mov_b32 v15, s11
	v_dual_mov_b32 v6, v5 :: v_dual_mov_b32 v13, s9
	v_readfirstlane_b32 s6, v2
	v_readfirstlane_b32 s7, v3
	s_wait_alu 0xfffd
	v_add_co_ci_u32_e64 v11, null, 0, v3, vcc_lo
	v_mov_b32_e32 v14, s10
	v_mov_b32_e32 v12, s8
	s_clause 0x3
	global_store_b128 v30, v[4:7], s[6:7]
	global_store_b128 v30, v[12:15], s[6:7] offset:16
	global_store_b128 v30, v[12:15], s[6:7] offset:32
	;; [unrolled: 1-line block ×3, first 2 shown]
	s_and_saveexec_b32 s1, s0
	s_cbranch_execz .LBB7_378
; %bb.371:
	v_mov_b32_e32 v6, 0
	s_mov_b32 s6, exec_lo
	s_clause 0x1
	global_load_b64 v[14:15], v6, s[2:3] offset:32 scope:SCOPE_SYS
	global_load_b64 v[2:3], v6, s[2:3] offset:40
	v_dual_mov_b32 v13, s5 :: v_dual_mov_b32 v12, s4
	s_wait_loadcnt 0x0
	v_and_b32_e32 v3, s5, v3
	v_and_b32_e32 v2, s4, v2
	s_delay_alu instid0(VALU_DEP_2) | instskip(NEXT) | instid1(VALU_DEP_2)
	v_mul_lo_u32 v3, 24, v3
	v_mul_lo_u32 v4, 0, v2
	v_mul_hi_u32 v5, 24, v2
	v_mul_lo_u32 v2, 24, v2
	s_delay_alu instid0(VALU_DEP_3) | instskip(NEXT) | instid1(VALU_DEP_2)
	v_add_nc_u32_e32 v3, v3, v4
	v_add_co_u32 v4, vcc_lo, v0, v2
	s_delay_alu instid0(VALU_DEP_2) | instskip(SKIP_1) | instid1(VALU_DEP_1)
	v_add_nc_u32_e32 v3, v3, v5
	s_wait_alu 0xfffd
	v_add_co_ci_u32_e64 v5, null, v1, v3, vcc_lo
	global_store_b64 v[4:5], v[14:15], off
	global_wb scope:SCOPE_SYS
	s_wait_storecnt 0x0
	global_atomic_cmpswap_b64 v[2:3], v6, v[12:15], s[2:3] offset:32 th:TH_ATOMIC_RETURN scope:SCOPE_SYS
	s_wait_loadcnt 0x0
	v_cmpx_ne_u64_e64 v[2:3], v[14:15]
	s_cbranch_execz .LBB7_374
; %bb.372:
	s_mov_b32 s7, 0
.LBB7_373:                              ; =>This Inner Loop Header: Depth=1
	v_dual_mov_b32 v0, s4 :: v_dual_mov_b32 v1, s5
	s_sleep 1
	global_store_b64 v[4:5], v[2:3], off
	global_wb scope:SCOPE_SYS
	s_wait_storecnt 0x0
	global_atomic_cmpswap_b64 v[0:1], v6, v[0:3], s[2:3] offset:32 th:TH_ATOMIC_RETURN scope:SCOPE_SYS
	s_wait_loadcnt 0x0
	v_cmp_eq_u64_e32 vcc_lo, v[0:1], v[2:3]
	v_dual_mov_b32 v3, v1 :: v_dual_mov_b32 v2, v0
	s_wait_alu 0xfffe
	s_or_b32 s7, vcc_lo, s7
	s_wait_alu 0xfffe
	s_and_not1_b32 exec_lo, exec_lo, s7
	s_cbranch_execnz .LBB7_373
.LBB7_374:
	s_wait_alu 0xfffe
	s_or_b32 exec_lo, exec_lo, s6
	v_mov_b32_e32 v3, 0
	s_mov_b32 s7, exec_lo
	s_mov_b32 s6, exec_lo
	s_wait_alu 0xfffe
	v_mbcnt_lo_u32_b32 v2, s7, 0
	global_load_b64 v[0:1], v3, s[2:3] offset:16
	v_cmpx_eq_u32_e32 0, v2
	s_cbranch_execz .LBB7_376
; %bb.375:
	s_bcnt1_i32_b32 s7, s7
	s_wait_alu 0xfffe
	v_mov_b32_e32 v2, s7
	global_wb scope:SCOPE_SYS
	s_wait_loadcnt 0x0
	s_wait_storecnt 0x0
	global_atomic_add_u64 v[0:1], v[2:3], off offset:8 scope:SCOPE_SYS
.LBB7_376:
	s_or_b32 exec_lo, exec_lo, s6
	s_wait_loadcnt 0x0
	global_load_b64 v[2:3], v[0:1], off offset:16
	s_wait_loadcnt 0x0
	v_cmp_eq_u64_e32 vcc_lo, 0, v[2:3]
	s_cbranch_vccnz .LBB7_378
; %bb.377:
	global_load_b32 v0, v[0:1], off offset:24
	v_mov_b32_e32 v1, 0
	s_wait_loadcnt 0x0
	v_readfirstlane_b32 s6, v0
	global_wb scope:SCOPE_SYS
	s_wait_storecnt 0x0
	global_store_b64 v[2:3], v[0:1], off scope:SCOPE_SYS
	s_and_b32 m0, s6, 0xffffff
	s_sendmsg sendmsg(MSG_INTERRUPT)
.LBB7_378:
	s_wait_alu 0xfffe
	s_or_b32 exec_lo, exec_lo, s1
	s_branch .LBB7_382
.LBB7_379:                              ;   in Loop: Header=BB7_382 Depth=1
	s_wait_alu 0xfffe
	s_or_b32 exec_lo, exec_lo, s1
	s_delay_alu instid0(VALU_DEP_1)
	v_readfirstlane_b32 s1, v0
	s_cmp_eq_u32 s1, 0
	s_cbranch_scc1 .LBB7_381
; %bb.380:                              ;   in Loop: Header=BB7_382 Depth=1
	s_sleep 1
	s_cbranch_execnz .LBB7_382
	s_branch .LBB7_428
.LBB7_381:
	s_branch .LBB7_428
.LBB7_382:                              ; =>This Inner Loop Header: Depth=1
	v_mov_b32_e32 v0, 1
	s_and_saveexec_b32 s1, s0
	s_cbranch_execz .LBB7_379
; %bb.383:                              ;   in Loop: Header=BB7_382 Depth=1
	global_load_b32 v0, v[8:9], off offset:20 scope:SCOPE_SYS
	s_wait_loadcnt 0x0
	global_inv scope:SCOPE_SYS
	v_and_b32_e32 v0, 1, v0
	s_branch .LBB7_379
.LBB7_384:
	s_load_b64 s[2:3], s[84:85], 0x50
	v_mbcnt_lo_u32_b32 v31, -1, 0
	s_wait_loadcnt 0x0
	v_mov_b32_e32 v6, 0
	v_mov_b32_e32 v7, 0
	s_delay_alu instid0(VALU_DEP_3) | instskip(SKIP_1) | instid1(VALU_DEP_1)
	v_readfirstlane_b32 s0, v31
	s_wait_alu 0xf1ff
	v_cmp_eq_u32_e64 s0, s0, v31
	s_and_saveexec_b32 s1, s0
	s_cbranch_execz .LBB7_390
; %bb.385:
	v_mov_b32_e32 v0, 0
	s_mov_b32 s4, exec_lo
	s_wait_kmcnt 0x0
	global_load_b64 v[3:4], v0, s[2:3] offset:24 scope:SCOPE_SYS
	s_wait_loadcnt 0x0
	global_inv scope:SCOPE_SYS
	s_clause 0x1
	global_load_b64 v[1:2], v0, s[2:3] offset:40
	global_load_b64 v[5:6], v0, s[2:3]
	s_wait_loadcnt 0x1
	v_and_b32_e32 v2, v2, v4
	v_and_b32_e32 v1, v1, v3
	s_delay_alu instid0(VALU_DEP_2) | instskip(NEXT) | instid1(VALU_DEP_2)
	v_mul_lo_u32 v2, 24, v2
	v_mul_lo_u32 v7, 0, v1
	v_mul_hi_u32 v8, 24, v1
	v_mul_lo_u32 v1, 24, v1
	s_delay_alu instid0(VALU_DEP_3) | instskip(SKIP_1) | instid1(VALU_DEP_2)
	v_add_nc_u32_e32 v2, v2, v7
	s_wait_loadcnt 0x0
	v_add_co_u32 v1, vcc_lo, v5, v1
	s_delay_alu instid0(VALU_DEP_2) | instskip(SKIP_1) | instid1(VALU_DEP_1)
	v_add_nc_u32_e32 v2, v2, v8
	s_wait_alu 0xfffd
	v_add_co_ci_u32_e64 v2, null, v6, v2, vcc_lo
	global_load_b64 v[1:2], v[1:2], off scope:SCOPE_SYS
	s_wait_loadcnt 0x0
	global_atomic_cmpswap_b64 v[6:7], v0, v[1:4], s[2:3] offset:24 th:TH_ATOMIC_RETURN scope:SCOPE_SYS
	s_wait_loadcnt 0x0
	global_inv scope:SCOPE_SYS
	v_cmpx_ne_u64_e64 v[6:7], v[3:4]
	s_cbranch_execz .LBB7_389
; %bb.386:
	s_mov_b32 s5, 0
.LBB7_387:                              ; =>This Inner Loop Header: Depth=1
	s_sleep 1
	s_clause 0x1
	global_load_b64 v[1:2], v0, s[2:3] offset:40
	global_load_b64 v[8:9], v0, s[2:3]
	v_dual_mov_b32 v3, v6 :: v_dual_mov_b32 v4, v7
	s_wait_loadcnt 0x1
	s_delay_alu instid0(VALU_DEP_1) | instskip(NEXT) | instid1(VALU_DEP_2)
	v_and_b32_e32 v1, v1, v3
	v_and_b32_e32 v2, v2, v4
	s_wait_loadcnt 0x0
	s_delay_alu instid0(VALU_DEP_2) | instskip(NEXT) | instid1(VALU_DEP_1)
	v_mad_co_u64_u32 v[5:6], null, v1, 24, v[8:9]
	v_mov_b32_e32 v1, v6
	s_delay_alu instid0(VALU_DEP_1) | instskip(NEXT) | instid1(VALU_DEP_1)
	v_mad_co_u64_u32 v[1:2], null, v2, 24, v[1:2]
	v_mov_b32_e32 v6, v1
	global_load_b64 v[1:2], v[5:6], off scope:SCOPE_SYS
	s_wait_loadcnt 0x0
	global_atomic_cmpswap_b64 v[6:7], v0, v[1:4], s[2:3] offset:24 th:TH_ATOMIC_RETURN scope:SCOPE_SYS
	s_wait_loadcnt 0x0
	global_inv scope:SCOPE_SYS
	v_cmp_eq_u64_e32 vcc_lo, v[6:7], v[3:4]
	s_wait_alu 0xfffe
	s_or_b32 s5, vcc_lo, s5
	s_wait_alu 0xfffe
	s_and_not1_b32 exec_lo, exec_lo, s5
	s_cbranch_execnz .LBB7_387
; %bb.388:
	s_or_b32 exec_lo, exec_lo, s5
.LBB7_389:
	s_wait_alu 0xfffe
	s_or_b32 exec_lo, exec_lo, s4
.LBB7_390:
	s_wait_alu 0xfffe
	s_or_b32 exec_lo, exec_lo, s1
	v_readfirstlane_b32 s4, v6
	v_mov_b32_e32 v5, 0
	v_readfirstlane_b32 s5, v7
	s_mov_b32 s1, exec_lo
	s_wait_kmcnt 0x0
	s_clause 0x1
	global_load_b64 v[8:9], v5, s[2:3] offset:40
	global_load_b128 v[0:3], v5, s[2:3]
	s_wait_loadcnt 0x1
	s_wait_alu 0xf1ff
	v_and_b32_e32 v11, s5, v9
	v_and_b32_e32 v10, s4, v8
	s_delay_alu instid0(VALU_DEP_2) | instskip(NEXT) | instid1(VALU_DEP_2)
	v_mul_lo_u32 v4, 24, v11
	v_mul_lo_u32 v6, 0, v10
	v_mul_hi_u32 v7, 24, v10
	v_mul_lo_u32 v8, 24, v10
	s_delay_alu instid0(VALU_DEP_3) | instskip(SKIP_1) | instid1(VALU_DEP_2)
	v_add_nc_u32_e32 v4, v4, v6
	s_wait_loadcnt 0x0
	v_add_co_u32 v8, vcc_lo, v0, v8
	s_delay_alu instid0(VALU_DEP_2) | instskip(SKIP_1) | instid1(VALU_DEP_1)
	v_add_nc_u32_e32 v4, v4, v7
	s_wait_alu 0xfffd
	v_add_co_ci_u32_e64 v9, null, v1, v4, vcc_lo
	s_and_saveexec_b32 s6, s0
	s_cbranch_execz .LBB7_392
; %bb.391:
	s_wait_alu 0xfffe
	v_dual_mov_b32 v4, s1 :: v_dual_mov_b32 v7, 1
	v_mov_b32_e32 v6, 2
	global_store_b128 v[8:9], v[4:7], off offset:8
.LBB7_392:
	s_wait_alu 0xfffe
	s_or_b32 exec_lo, exec_lo, s6
	v_lshlrev_b64_e32 v[10:11], 12, v[10:11]
	v_dual_mov_b32 v7, v5 :: v_dual_lshlrev_b32 v30, 6, v31
	s_mov_b32 s8, 0
	s_wait_alu 0xfffe
	s_mov_b32 s11, s8
	s_delay_alu instid0(VALU_DEP_2)
	v_add_co_u32 v2, vcc_lo, v2, v10
	s_wait_alu 0xfffd
	v_add_co_ci_u32_e64 v3, null, v3, v11, vcc_lo
	s_mov_b32 s9, s8
	v_add_co_u32 v10, vcc_lo, v2, v30
	s_mov_b32 s10, s8
	s_wait_alu 0xfffe
	v_dual_mov_b32 v4, 33 :: v_dual_mov_b32 v15, s11
	v_dual_mov_b32 v6, v5 :: v_dual_mov_b32 v13, s9
	v_readfirstlane_b32 s6, v2
	v_readfirstlane_b32 s7, v3
	s_wait_alu 0xfffd
	v_add_co_ci_u32_e64 v11, null, 0, v3, vcc_lo
	v_mov_b32_e32 v14, s10
	v_mov_b32_e32 v12, s8
	s_clause 0x3
	global_store_b128 v30, v[4:7], s[6:7]
	global_store_b128 v30, v[12:15], s[6:7] offset:16
	global_store_b128 v30, v[12:15], s[6:7] offset:32
	;; [unrolled: 1-line block ×3, first 2 shown]
	s_and_saveexec_b32 s1, s0
	s_cbranch_execz .LBB7_400
; %bb.393:
	v_mov_b32_e32 v6, 0
	s_mov_b32 s6, exec_lo
	s_clause 0x1
	global_load_b64 v[14:15], v6, s[2:3] offset:32 scope:SCOPE_SYS
	global_load_b64 v[2:3], v6, s[2:3] offset:40
	v_dual_mov_b32 v13, s5 :: v_dual_mov_b32 v12, s4
	s_wait_loadcnt 0x0
	v_and_b32_e32 v3, s5, v3
	v_and_b32_e32 v2, s4, v2
	s_delay_alu instid0(VALU_DEP_2) | instskip(NEXT) | instid1(VALU_DEP_2)
	v_mul_lo_u32 v3, 24, v3
	v_mul_lo_u32 v4, 0, v2
	v_mul_hi_u32 v5, 24, v2
	v_mul_lo_u32 v2, 24, v2
	s_delay_alu instid0(VALU_DEP_3) | instskip(NEXT) | instid1(VALU_DEP_2)
	v_add_nc_u32_e32 v3, v3, v4
	v_add_co_u32 v4, vcc_lo, v0, v2
	s_delay_alu instid0(VALU_DEP_2) | instskip(SKIP_1) | instid1(VALU_DEP_1)
	v_add_nc_u32_e32 v3, v3, v5
	s_wait_alu 0xfffd
	v_add_co_ci_u32_e64 v5, null, v1, v3, vcc_lo
	global_store_b64 v[4:5], v[14:15], off
	global_wb scope:SCOPE_SYS
	s_wait_storecnt 0x0
	global_atomic_cmpswap_b64 v[2:3], v6, v[12:15], s[2:3] offset:32 th:TH_ATOMIC_RETURN scope:SCOPE_SYS
	s_wait_loadcnt 0x0
	v_cmpx_ne_u64_e64 v[2:3], v[14:15]
	s_cbranch_execz .LBB7_396
; %bb.394:
	s_mov_b32 s7, 0
.LBB7_395:                              ; =>This Inner Loop Header: Depth=1
	v_dual_mov_b32 v0, s4 :: v_dual_mov_b32 v1, s5
	s_sleep 1
	global_store_b64 v[4:5], v[2:3], off
	global_wb scope:SCOPE_SYS
	s_wait_storecnt 0x0
	global_atomic_cmpswap_b64 v[0:1], v6, v[0:3], s[2:3] offset:32 th:TH_ATOMIC_RETURN scope:SCOPE_SYS
	s_wait_loadcnt 0x0
	v_cmp_eq_u64_e32 vcc_lo, v[0:1], v[2:3]
	v_dual_mov_b32 v3, v1 :: v_dual_mov_b32 v2, v0
	s_wait_alu 0xfffe
	s_or_b32 s7, vcc_lo, s7
	s_wait_alu 0xfffe
	s_and_not1_b32 exec_lo, exec_lo, s7
	s_cbranch_execnz .LBB7_395
.LBB7_396:
	s_wait_alu 0xfffe
	s_or_b32 exec_lo, exec_lo, s6
	v_mov_b32_e32 v3, 0
	s_mov_b32 s7, exec_lo
	s_mov_b32 s6, exec_lo
	s_wait_alu 0xfffe
	v_mbcnt_lo_u32_b32 v2, s7, 0
	global_load_b64 v[0:1], v3, s[2:3] offset:16
	v_cmpx_eq_u32_e32 0, v2
	s_cbranch_execz .LBB7_398
; %bb.397:
	s_bcnt1_i32_b32 s7, s7
	s_wait_alu 0xfffe
	v_mov_b32_e32 v2, s7
	global_wb scope:SCOPE_SYS
	s_wait_loadcnt 0x0
	s_wait_storecnt 0x0
	global_atomic_add_u64 v[0:1], v[2:3], off offset:8 scope:SCOPE_SYS
.LBB7_398:
	s_or_b32 exec_lo, exec_lo, s6
	s_wait_loadcnt 0x0
	global_load_b64 v[2:3], v[0:1], off offset:16
	s_wait_loadcnt 0x0
	v_cmp_eq_u64_e32 vcc_lo, 0, v[2:3]
	s_cbranch_vccnz .LBB7_400
; %bb.399:
	global_load_b32 v0, v[0:1], off offset:24
	v_mov_b32_e32 v1, 0
	s_wait_loadcnt 0x0
	v_readfirstlane_b32 s6, v0
	global_wb scope:SCOPE_SYS
	s_wait_storecnt 0x0
	global_store_b64 v[2:3], v[0:1], off scope:SCOPE_SYS
	s_and_b32 m0, s6, 0xffffff
	s_sendmsg sendmsg(MSG_INTERRUPT)
.LBB7_400:
	s_wait_alu 0xfffe
	s_or_b32 exec_lo, exec_lo, s1
	s_branch .LBB7_404
.LBB7_401:                              ;   in Loop: Header=BB7_404 Depth=1
	s_wait_alu 0xfffe
	s_or_b32 exec_lo, exec_lo, s1
	s_delay_alu instid0(VALU_DEP_1)
	v_readfirstlane_b32 s1, v0
	s_cmp_eq_u32 s1, 0
	s_cbranch_scc1 .LBB7_403
; %bb.402:                              ;   in Loop: Header=BB7_404 Depth=1
	s_sleep 1
	s_cbranch_execnz .LBB7_404
	s_branch .LBB7_510
.LBB7_403:
	s_branch .LBB7_510
.LBB7_404:                              ; =>This Inner Loop Header: Depth=1
	v_mov_b32_e32 v0, 1
	s_and_saveexec_b32 s1, s0
	s_cbranch_execz .LBB7_401
; %bb.405:                              ;   in Loop: Header=BB7_404 Depth=1
	global_load_b32 v0, v[8:9], off offset:20 scope:SCOPE_SYS
	s_wait_loadcnt 0x0
	global_inv scope:SCOPE_SYS
	v_and_b32_e32 v0, 1, v0
	s_branch .LBB7_401
.LBB7_406:
	s_load_b64 s[2:3], s[84:85], 0x50
	v_mbcnt_lo_u32_b32 v31, -1, 0
	s_wait_loadcnt 0x0
	v_mov_b32_e32 v6, 0
	v_mov_b32_e32 v7, 0
	s_delay_alu instid0(VALU_DEP_3) | instskip(SKIP_1) | instid1(VALU_DEP_1)
	v_readfirstlane_b32 s0, v31
	s_wait_alu 0xf1ff
	v_cmp_eq_u32_e64 s0, s0, v31
	s_and_saveexec_b32 s1, s0
	s_cbranch_execz .LBB7_412
; %bb.407:
	v_mov_b32_e32 v0, 0
	s_mov_b32 s4, exec_lo
	s_wait_kmcnt 0x0
	global_load_b64 v[3:4], v0, s[2:3] offset:24 scope:SCOPE_SYS
	s_wait_loadcnt 0x0
	global_inv scope:SCOPE_SYS
	s_clause 0x1
	global_load_b64 v[1:2], v0, s[2:3] offset:40
	global_load_b64 v[5:6], v0, s[2:3]
	s_wait_loadcnt 0x1
	v_and_b32_e32 v2, v2, v4
	v_and_b32_e32 v1, v1, v3
	s_delay_alu instid0(VALU_DEP_2) | instskip(NEXT) | instid1(VALU_DEP_2)
	v_mul_lo_u32 v2, 24, v2
	v_mul_lo_u32 v7, 0, v1
	v_mul_hi_u32 v8, 24, v1
	v_mul_lo_u32 v1, 24, v1
	s_delay_alu instid0(VALU_DEP_3) | instskip(SKIP_1) | instid1(VALU_DEP_2)
	v_add_nc_u32_e32 v2, v2, v7
	s_wait_loadcnt 0x0
	v_add_co_u32 v1, vcc_lo, v5, v1
	s_delay_alu instid0(VALU_DEP_2) | instskip(SKIP_1) | instid1(VALU_DEP_1)
	v_add_nc_u32_e32 v2, v2, v8
	s_wait_alu 0xfffd
	v_add_co_ci_u32_e64 v2, null, v6, v2, vcc_lo
	global_load_b64 v[1:2], v[1:2], off scope:SCOPE_SYS
	s_wait_loadcnt 0x0
	global_atomic_cmpswap_b64 v[6:7], v0, v[1:4], s[2:3] offset:24 th:TH_ATOMIC_RETURN scope:SCOPE_SYS
	s_wait_loadcnt 0x0
	global_inv scope:SCOPE_SYS
	v_cmpx_ne_u64_e64 v[6:7], v[3:4]
	s_cbranch_execz .LBB7_411
; %bb.408:
	s_mov_b32 s5, 0
.LBB7_409:                              ; =>This Inner Loop Header: Depth=1
	s_sleep 1
	s_clause 0x1
	global_load_b64 v[1:2], v0, s[2:3] offset:40
	global_load_b64 v[8:9], v0, s[2:3]
	v_dual_mov_b32 v3, v6 :: v_dual_mov_b32 v4, v7
	s_wait_loadcnt 0x1
	s_delay_alu instid0(VALU_DEP_1) | instskip(NEXT) | instid1(VALU_DEP_2)
	v_and_b32_e32 v1, v1, v3
	v_and_b32_e32 v2, v2, v4
	s_wait_loadcnt 0x0
	s_delay_alu instid0(VALU_DEP_2) | instskip(NEXT) | instid1(VALU_DEP_1)
	v_mad_co_u64_u32 v[5:6], null, v1, 24, v[8:9]
	v_mov_b32_e32 v1, v6
	s_delay_alu instid0(VALU_DEP_1) | instskip(NEXT) | instid1(VALU_DEP_1)
	v_mad_co_u64_u32 v[1:2], null, v2, 24, v[1:2]
	v_mov_b32_e32 v6, v1
	global_load_b64 v[1:2], v[5:6], off scope:SCOPE_SYS
	s_wait_loadcnt 0x0
	global_atomic_cmpswap_b64 v[6:7], v0, v[1:4], s[2:3] offset:24 th:TH_ATOMIC_RETURN scope:SCOPE_SYS
	s_wait_loadcnt 0x0
	global_inv scope:SCOPE_SYS
	v_cmp_eq_u64_e32 vcc_lo, v[6:7], v[3:4]
	s_wait_alu 0xfffe
	s_or_b32 s5, vcc_lo, s5
	s_wait_alu 0xfffe
	s_and_not1_b32 exec_lo, exec_lo, s5
	s_cbranch_execnz .LBB7_409
; %bb.410:
	s_or_b32 exec_lo, exec_lo, s5
.LBB7_411:
	s_wait_alu 0xfffe
	s_or_b32 exec_lo, exec_lo, s4
.LBB7_412:
	s_wait_alu 0xfffe
	s_or_b32 exec_lo, exec_lo, s1
	v_readfirstlane_b32 s4, v6
	v_mov_b32_e32 v5, 0
	v_readfirstlane_b32 s5, v7
	s_mov_b32 s1, exec_lo
	s_wait_kmcnt 0x0
	s_clause 0x1
	global_load_b64 v[8:9], v5, s[2:3] offset:40
	global_load_b128 v[0:3], v5, s[2:3]
	s_wait_loadcnt 0x1
	s_wait_alu 0xf1ff
	v_and_b32_e32 v11, s5, v9
	v_and_b32_e32 v10, s4, v8
	s_delay_alu instid0(VALU_DEP_2) | instskip(NEXT) | instid1(VALU_DEP_2)
	v_mul_lo_u32 v4, 24, v11
	v_mul_lo_u32 v6, 0, v10
	v_mul_hi_u32 v7, 24, v10
	v_mul_lo_u32 v8, 24, v10
	s_delay_alu instid0(VALU_DEP_3) | instskip(SKIP_1) | instid1(VALU_DEP_2)
	v_add_nc_u32_e32 v4, v4, v6
	s_wait_loadcnt 0x0
	v_add_co_u32 v8, vcc_lo, v0, v8
	s_delay_alu instid0(VALU_DEP_2) | instskip(SKIP_1) | instid1(VALU_DEP_1)
	v_add_nc_u32_e32 v4, v4, v7
	s_wait_alu 0xfffd
	v_add_co_ci_u32_e64 v9, null, v1, v4, vcc_lo
	s_and_saveexec_b32 s6, s0
	s_cbranch_execz .LBB7_414
; %bb.413:
	s_wait_alu 0xfffe
	v_dual_mov_b32 v4, s1 :: v_dual_mov_b32 v7, 1
	v_mov_b32_e32 v6, 2
	global_store_b128 v[8:9], v[4:7], off offset:8
.LBB7_414:
	s_wait_alu 0xfffe
	s_or_b32 exec_lo, exec_lo, s6
	v_lshlrev_b64_e32 v[10:11], 12, v[10:11]
	v_dual_mov_b32 v7, v5 :: v_dual_lshlrev_b32 v30, 6, v31
	s_mov_b32 s8, 0
	s_wait_alu 0xfffe
	s_mov_b32 s11, s8
	s_delay_alu instid0(VALU_DEP_2)
	v_add_co_u32 v2, vcc_lo, v2, v10
	s_wait_alu 0xfffd
	v_add_co_ci_u32_e64 v3, null, v3, v11, vcc_lo
	s_mov_b32 s9, s8
	v_add_co_u32 v10, vcc_lo, v2, v30
	s_mov_b32 s10, s8
	s_wait_alu 0xfffe
	v_dual_mov_b32 v4, 33 :: v_dual_mov_b32 v15, s11
	v_dual_mov_b32 v6, v5 :: v_dual_mov_b32 v13, s9
	v_readfirstlane_b32 s6, v2
	v_readfirstlane_b32 s7, v3
	s_wait_alu 0xfffd
	v_add_co_ci_u32_e64 v11, null, 0, v3, vcc_lo
	v_mov_b32_e32 v14, s10
	v_mov_b32_e32 v12, s8
	s_clause 0x3
	global_store_b128 v30, v[4:7], s[6:7]
	global_store_b128 v30, v[12:15], s[6:7] offset:16
	global_store_b128 v30, v[12:15], s[6:7] offset:32
	;; [unrolled: 1-line block ×3, first 2 shown]
	s_and_saveexec_b32 s1, s0
	s_cbranch_execz .LBB7_422
; %bb.415:
	v_mov_b32_e32 v6, 0
	s_mov_b32 s6, exec_lo
	s_clause 0x1
	global_load_b64 v[14:15], v6, s[2:3] offset:32 scope:SCOPE_SYS
	global_load_b64 v[2:3], v6, s[2:3] offset:40
	v_dual_mov_b32 v13, s5 :: v_dual_mov_b32 v12, s4
	s_wait_loadcnt 0x0
	v_and_b32_e32 v3, s5, v3
	v_and_b32_e32 v2, s4, v2
	s_delay_alu instid0(VALU_DEP_2) | instskip(NEXT) | instid1(VALU_DEP_2)
	v_mul_lo_u32 v3, 24, v3
	v_mul_lo_u32 v4, 0, v2
	v_mul_hi_u32 v5, 24, v2
	v_mul_lo_u32 v2, 24, v2
	s_delay_alu instid0(VALU_DEP_3) | instskip(NEXT) | instid1(VALU_DEP_2)
	v_add_nc_u32_e32 v3, v3, v4
	v_add_co_u32 v4, vcc_lo, v0, v2
	s_delay_alu instid0(VALU_DEP_2) | instskip(SKIP_1) | instid1(VALU_DEP_1)
	v_add_nc_u32_e32 v3, v3, v5
	s_wait_alu 0xfffd
	v_add_co_ci_u32_e64 v5, null, v1, v3, vcc_lo
	global_store_b64 v[4:5], v[14:15], off
	global_wb scope:SCOPE_SYS
	s_wait_storecnt 0x0
	global_atomic_cmpswap_b64 v[2:3], v6, v[12:15], s[2:3] offset:32 th:TH_ATOMIC_RETURN scope:SCOPE_SYS
	s_wait_loadcnt 0x0
	v_cmpx_ne_u64_e64 v[2:3], v[14:15]
	s_cbranch_execz .LBB7_418
; %bb.416:
	s_mov_b32 s7, 0
.LBB7_417:                              ; =>This Inner Loop Header: Depth=1
	v_dual_mov_b32 v0, s4 :: v_dual_mov_b32 v1, s5
	s_sleep 1
	global_store_b64 v[4:5], v[2:3], off
	global_wb scope:SCOPE_SYS
	s_wait_storecnt 0x0
	global_atomic_cmpswap_b64 v[0:1], v6, v[0:3], s[2:3] offset:32 th:TH_ATOMIC_RETURN scope:SCOPE_SYS
	s_wait_loadcnt 0x0
	v_cmp_eq_u64_e32 vcc_lo, v[0:1], v[2:3]
	v_dual_mov_b32 v3, v1 :: v_dual_mov_b32 v2, v0
	s_wait_alu 0xfffe
	s_or_b32 s7, vcc_lo, s7
	s_wait_alu 0xfffe
	s_and_not1_b32 exec_lo, exec_lo, s7
	s_cbranch_execnz .LBB7_417
.LBB7_418:
	s_wait_alu 0xfffe
	s_or_b32 exec_lo, exec_lo, s6
	v_mov_b32_e32 v3, 0
	s_mov_b32 s7, exec_lo
	s_mov_b32 s6, exec_lo
	s_wait_alu 0xfffe
	v_mbcnt_lo_u32_b32 v2, s7, 0
	global_load_b64 v[0:1], v3, s[2:3] offset:16
	v_cmpx_eq_u32_e32 0, v2
	s_cbranch_execz .LBB7_420
; %bb.419:
	s_bcnt1_i32_b32 s7, s7
	s_wait_alu 0xfffe
	v_mov_b32_e32 v2, s7
	global_wb scope:SCOPE_SYS
	s_wait_loadcnt 0x0
	s_wait_storecnt 0x0
	global_atomic_add_u64 v[0:1], v[2:3], off offset:8 scope:SCOPE_SYS
.LBB7_420:
	s_or_b32 exec_lo, exec_lo, s6
	s_wait_loadcnt 0x0
	global_load_b64 v[2:3], v[0:1], off offset:16
	s_wait_loadcnt 0x0
	v_cmp_eq_u64_e32 vcc_lo, 0, v[2:3]
	s_cbranch_vccnz .LBB7_422
; %bb.421:
	global_load_b32 v0, v[0:1], off offset:24
	v_mov_b32_e32 v1, 0
	s_wait_loadcnt 0x0
	v_readfirstlane_b32 s6, v0
	global_wb scope:SCOPE_SYS
	s_wait_storecnt 0x0
	global_store_b64 v[2:3], v[0:1], off scope:SCOPE_SYS
	s_and_b32 m0, s6, 0xffffff
	s_sendmsg sendmsg(MSG_INTERRUPT)
.LBB7_422:
	s_wait_alu 0xfffe
	s_or_b32 exec_lo, exec_lo, s1
	s_branch .LBB7_426
.LBB7_423:                              ;   in Loop: Header=BB7_426 Depth=1
	s_wait_alu 0xfffe
	s_or_b32 exec_lo, exec_lo, s1
	s_delay_alu instid0(VALU_DEP_1)
	v_readfirstlane_b32 s1, v0
	s_cmp_eq_u32 s1, 0
	s_cbranch_scc1 .LBB7_425
; %bb.424:                              ;   in Loop: Header=BB7_426 Depth=1
	s_sleep 1
	s_cbranch_execnz .LBB7_426
	s_branch .LBB7_592
.LBB7_425:
	s_branch .LBB7_592
.LBB7_426:                              ; =>This Inner Loop Header: Depth=1
	v_mov_b32_e32 v0, 1
	s_and_saveexec_b32 s1, s0
	s_cbranch_execz .LBB7_423
; %bb.427:                              ;   in Loop: Header=BB7_426 Depth=1
	global_load_b32 v0, v[8:9], off offset:20 scope:SCOPE_SYS
	s_wait_loadcnt 0x0
	global_inv scope:SCOPE_SYS
	v_and_b32_e32 v0, 1, v0
	s_branch .LBB7_423
.LBB7_428:
	global_load_b64 v[0:1], v[10:11], off
	s_and_saveexec_b32 s6, s0
	s_cbranch_execz .LBB7_432
; %bb.429:
	v_mov_b32_e32 v8, 0
	s_clause 0x2
	global_load_b64 v[2:3], v8, s[2:3] offset:40
	global_load_b64 v[11:12], v8, s[2:3] offset:24 scope:SCOPE_SYS
	global_load_b64 v[4:5], v8, s[2:3]
	s_wait_loadcnt 0x2
	v_readfirstlane_b32 s8, v2
	v_readfirstlane_b32 s9, v3
	s_add_nc_u64 s[0:1], s[8:9], 1
	s_wait_alu 0xfffe
	s_add_nc_u64 s[4:5], s[0:1], s[4:5]
	s_wait_alu 0xfffe
	s_cmp_eq_u64 s[4:5], 0
	s_cselect_b32 s1, s1, s5
	s_cselect_b32 s0, s0, s4
	s_wait_alu 0xfffe
	v_mov_b32_e32 v10, s1
	s_and_b64 s[4:5], s[0:1], s[8:9]
	v_mov_b32_e32 v9, s0
	s_wait_alu 0xfffe
	s_mul_u64 s[4:5], s[4:5], 24
	s_wait_loadcnt 0x0
	s_wait_alu 0xfffe
	v_add_co_u32 v6, vcc_lo, v4, s4
	s_wait_alu 0xfffd
	v_add_co_ci_u32_e64 v7, null, s5, v5, vcc_lo
	global_store_b64 v[6:7], v[11:12], off
	global_wb scope:SCOPE_SYS
	s_wait_storecnt 0x0
	global_atomic_cmpswap_b64 v[4:5], v8, v[9:12], s[2:3] offset:24 th:TH_ATOMIC_RETURN scope:SCOPE_SYS
	s_wait_loadcnt 0x0
	v_cmp_ne_u64_e32 vcc_lo, v[4:5], v[11:12]
	s_and_b32 exec_lo, exec_lo, vcc_lo
	s_cbranch_execz .LBB7_432
; %bb.430:
	s_mov_b32 s4, 0
.LBB7_431:                              ; =>This Inner Loop Header: Depth=1
	v_dual_mov_b32 v2, s0 :: v_dual_mov_b32 v3, s1
	s_sleep 1
	global_store_b64 v[6:7], v[4:5], off
	global_wb scope:SCOPE_SYS
	s_wait_storecnt 0x0
	global_atomic_cmpswap_b64 v[2:3], v8, v[2:5], s[2:3] offset:24 th:TH_ATOMIC_RETURN scope:SCOPE_SYS
	s_wait_loadcnt 0x0
	v_cmp_eq_u64_e32 vcc_lo, v[2:3], v[4:5]
	v_dual_mov_b32 v5, v3 :: v_dual_mov_b32 v4, v2
	s_wait_alu 0xfffe
	s_or_b32 s4, vcc_lo, s4
	s_wait_alu 0xfffe
	s_and_not1_b32 exec_lo, exec_lo, s4
	s_cbranch_execnz .LBB7_431
.LBB7_432:
	s_wait_alu 0xfffe
	s_or_b32 exec_lo, exec_lo, s6
	s_getpc_b64 s[4:5]
	s_wait_alu 0xfffe
	s_sext_i32_i16 s5, s5
	s_add_co_u32 s4, s4, .str.28@rel32@lo+12
	s_wait_alu 0xfffe
	s_add_co_ci_u32 s5, s5, .str.28@rel32@hi+24
	s_wait_alu 0xfffe
	s_cmp_lg_u64 s[4:5], 0
	s_cbranch_scc0 .LBB7_677
; %bb.433:
	s_wait_loadcnt 0x0
	v_dual_mov_b32 v7, v1 :: v_dual_and_b32 v6, -3, v0
	v_dual_mov_b32 v3, 0 :: v_dual_mov_b32 v4, 2
	v_mov_b32_e32 v5, 1
	s_mov_b64 s[6:7], 35
	s_branch .LBB7_435
.LBB7_434:                              ;   in Loop: Header=BB7_435 Depth=1
	s_wait_alu 0xfffe
	s_or_b32 exec_lo, exec_lo, s12
	s_sub_nc_u64 s[6:7], s[6:7], s[8:9]
	s_add_nc_u64 s[4:5], s[4:5], s[8:9]
	s_wait_alu 0xfffe
	s_cmp_lg_u64 s[6:7], 0
	s_cbranch_scc0 .LBB7_674
.LBB7_435:                              ; =>This Loop Header: Depth=1
                                        ;     Child Loop BB7_438 Depth 2
                                        ;     Child Loop BB7_445 Depth 2
	;; [unrolled: 1-line block ×11, first 2 shown]
	s_wait_alu 0xfffe
	v_cmp_lt_u64_e64 s0, s[6:7], 56
	v_cmp_gt_u64_e64 s1, s[6:7], 7
	s_and_b32 s0, s0, exec_lo
	s_cselect_b32 s9, s7, 0
	s_cselect_b32 s8, s6, 56
	s_and_b32 vcc_lo, exec_lo, s1
	s_wait_alu 0xfffe
	s_cbranch_vccnz .LBB7_440
; %bb.436:                              ;   in Loop: Header=BB7_435 Depth=1
	s_wait_loadcnt 0x0
	v_mov_b32_e32 v8, 0
	v_mov_b32_e32 v9, 0
	s_cmp_eq_u64 s[6:7], 0
	s_cbranch_scc1 .LBB7_439
; %bb.437:                              ;   in Loop: Header=BB7_435 Depth=1
	s_mov_b64 s[0:1], 0
	s_mov_b64 s[10:11], 0
.LBB7_438:                              ;   Parent Loop BB7_435 Depth=1
                                        ; =>  This Inner Loop Header: Depth=2
	s_wait_alu 0xfffe
	s_add_nc_u64 s[12:13], s[4:5], s[10:11]
	s_add_nc_u64 s[10:11], s[10:11], 1
	global_load_u8 v2, v3, s[12:13]
	s_wait_alu 0xfffe
	s_cmp_lg_u32 s8, s10
	s_wait_loadcnt 0x0
	v_and_b32_e32 v2, 0xffff, v2
	s_delay_alu instid0(VALU_DEP_1) | instskip(SKIP_1) | instid1(VALU_DEP_1)
	v_lshlrev_b64_e32 v[10:11], s0, v[2:3]
	s_add_nc_u64 s[0:1], s[0:1], 8
	v_or_b32_e32 v8, v10, v8
	s_delay_alu instid0(VALU_DEP_2)
	v_or_b32_e32 v9, v11, v9
	s_cbranch_scc1 .LBB7_438
.LBB7_439:                              ;   in Loop: Header=BB7_435 Depth=1
	s_mov_b64 s[10:11], s[4:5]
	s_mov_b32 s14, 0
	s_cbranch_execz .LBB7_441
	s_branch .LBB7_442
.LBB7_440:                              ;   in Loop: Header=BB7_435 Depth=1
	s_add_nc_u64 s[10:11], s[4:5], 8
	s_mov_b32 s14, 0
.LBB7_441:                              ;   in Loop: Header=BB7_435 Depth=1
	s_wait_loadcnt 0x0
	global_load_b64 v[8:9], v3, s[4:5]
	s_add_co_i32 s14, s8, -8
.LBB7_442:                              ;   in Loop: Header=BB7_435 Depth=1
	s_wait_alu 0xfffe
	s_cmp_gt_u32 s14, 7
	s_cbranch_scc1 .LBB7_447
; %bb.443:                              ;   in Loop: Header=BB7_435 Depth=1
	v_mov_b32_e32 v10, 0
	v_mov_b32_e32 v11, 0
	s_cmp_eq_u32 s14, 0
	s_cbranch_scc1 .LBB7_446
; %bb.444:                              ;   in Loop: Header=BB7_435 Depth=1
	s_mov_b64 s[0:1], 0
	s_mov_b64 s[12:13], 0
.LBB7_445:                              ;   Parent Loop BB7_435 Depth=1
                                        ; =>  This Inner Loop Header: Depth=2
	s_wait_alu 0xfffe
	s_add_nc_u64 s[30:31], s[10:11], s[12:13]
	s_add_nc_u64 s[12:13], s[12:13], 1
	global_load_u8 v2, v3, s[30:31]
	s_wait_alu 0xfffe
	s_cmp_lg_u32 s14, s12
	s_wait_loadcnt 0x0
	v_and_b32_e32 v2, 0xffff, v2
	s_delay_alu instid0(VALU_DEP_1) | instskip(SKIP_1) | instid1(VALU_DEP_1)
	v_lshlrev_b64_e32 v[12:13], s0, v[2:3]
	s_add_nc_u64 s[0:1], s[0:1], 8
	v_or_b32_e32 v10, v12, v10
	s_delay_alu instid0(VALU_DEP_2)
	v_or_b32_e32 v11, v13, v11
	s_cbranch_scc1 .LBB7_445
.LBB7_446:                              ;   in Loop: Header=BB7_435 Depth=1
	s_mov_b64 s[0:1], s[10:11]
	s_mov_b32 s15, 0
	s_cbranch_execz .LBB7_448
	s_branch .LBB7_449
.LBB7_447:                              ;   in Loop: Header=BB7_435 Depth=1
	s_add_nc_u64 s[0:1], s[10:11], 8
                                        ; implicit-def: $vgpr10_vgpr11
	s_mov_b32 s15, 0
.LBB7_448:                              ;   in Loop: Header=BB7_435 Depth=1
	global_load_b64 v[10:11], v3, s[10:11]
	s_add_co_i32 s15, s14, -8
.LBB7_449:                              ;   in Loop: Header=BB7_435 Depth=1
	s_wait_alu 0xfffe
	s_cmp_gt_u32 s15, 7
	s_cbranch_scc1 .LBB7_454
; %bb.450:                              ;   in Loop: Header=BB7_435 Depth=1
	v_mov_b32_e32 v12, 0
	v_mov_b32_e32 v13, 0
	s_cmp_eq_u32 s15, 0
	s_cbranch_scc1 .LBB7_453
; %bb.451:                              ;   in Loop: Header=BB7_435 Depth=1
	s_mov_b64 s[10:11], 0
	s_mov_b64 s[12:13], 0
.LBB7_452:                              ;   Parent Loop BB7_435 Depth=1
                                        ; =>  This Inner Loop Header: Depth=2
	s_wait_alu 0xfffe
	s_add_nc_u64 s[30:31], s[0:1], s[12:13]
	s_add_nc_u64 s[12:13], s[12:13], 1
	global_load_u8 v2, v3, s[30:31]
	s_wait_alu 0xfffe
	s_cmp_lg_u32 s15, s12
	s_wait_loadcnt 0x0
	v_and_b32_e32 v2, 0xffff, v2
	s_delay_alu instid0(VALU_DEP_1) | instskip(SKIP_1) | instid1(VALU_DEP_1)
	v_lshlrev_b64_e32 v[14:15], s10, v[2:3]
	s_add_nc_u64 s[10:11], s[10:11], 8
	v_or_b32_e32 v12, v14, v12
	s_delay_alu instid0(VALU_DEP_2)
	v_or_b32_e32 v13, v15, v13
	s_cbranch_scc1 .LBB7_452
.LBB7_453:                              ;   in Loop: Header=BB7_435 Depth=1
	s_mov_b64 s[10:11], s[0:1]
	s_mov_b32 s14, 0
	s_cbranch_execz .LBB7_455
	s_branch .LBB7_456
.LBB7_454:                              ;   in Loop: Header=BB7_435 Depth=1
	s_add_nc_u64 s[10:11], s[0:1], 8
	s_mov_b32 s14, 0
.LBB7_455:                              ;   in Loop: Header=BB7_435 Depth=1
	global_load_b64 v[12:13], v3, s[0:1]
	s_add_co_i32 s14, s15, -8
.LBB7_456:                              ;   in Loop: Header=BB7_435 Depth=1
	s_wait_alu 0xfffe
	s_cmp_gt_u32 s14, 7
	s_cbranch_scc1 .LBB7_461
; %bb.457:                              ;   in Loop: Header=BB7_435 Depth=1
	v_mov_b32_e32 v14, 0
	v_mov_b32_e32 v15, 0
	s_cmp_eq_u32 s14, 0
	s_cbranch_scc1 .LBB7_460
; %bb.458:                              ;   in Loop: Header=BB7_435 Depth=1
	s_mov_b64 s[0:1], 0
	s_mov_b64 s[12:13], 0
.LBB7_459:                              ;   Parent Loop BB7_435 Depth=1
                                        ; =>  This Inner Loop Header: Depth=2
	s_wait_alu 0xfffe
	s_add_nc_u64 s[30:31], s[10:11], s[12:13]
	s_add_nc_u64 s[12:13], s[12:13], 1
	global_load_u8 v2, v3, s[30:31]
	s_wait_alu 0xfffe
	s_cmp_lg_u32 s14, s12
	s_wait_loadcnt 0x0
	v_and_b32_e32 v2, 0xffff, v2
	s_delay_alu instid0(VALU_DEP_1) | instskip(SKIP_1) | instid1(VALU_DEP_1)
	v_lshlrev_b64_e32 v[16:17], s0, v[2:3]
	s_add_nc_u64 s[0:1], s[0:1], 8
	v_or_b32_e32 v14, v16, v14
	s_delay_alu instid0(VALU_DEP_2)
	v_or_b32_e32 v15, v17, v15
	s_cbranch_scc1 .LBB7_459
.LBB7_460:                              ;   in Loop: Header=BB7_435 Depth=1
	s_mov_b64 s[0:1], s[10:11]
	s_mov_b32 s15, 0
	s_cbranch_execz .LBB7_462
	s_branch .LBB7_463
.LBB7_461:                              ;   in Loop: Header=BB7_435 Depth=1
	s_add_nc_u64 s[0:1], s[10:11], 8
                                        ; implicit-def: $vgpr14_vgpr15
	s_mov_b32 s15, 0
.LBB7_462:                              ;   in Loop: Header=BB7_435 Depth=1
	global_load_b64 v[14:15], v3, s[10:11]
	s_add_co_i32 s15, s14, -8
.LBB7_463:                              ;   in Loop: Header=BB7_435 Depth=1
	s_wait_alu 0xfffe
	s_cmp_gt_u32 s15, 7
	s_cbranch_scc1 .LBB7_468
; %bb.464:                              ;   in Loop: Header=BB7_435 Depth=1
	v_mov_b32_e32 v16, 0
	v_mov_b32_e32 v17, 0
	s_cmp_eq_u32 s15, 0
	s_cbranch_scc1 .LBB7_467
; %bb.465:                              ;   in Loop: Header=BB7_435 Depth=1
	s_mov_b64 s[10:11], 0
	s_mov_b64 s[12:13], 0
.LBB7_466:                              ;   Parent Loop BB7_435 Depth=1
                                        ; =>  This Inner Loop Header: Depth=2
	s_wait_alu 0xfffe
	s_add_nc_u64 s[30:31], s[0:1], s[12:13]
	s_add_nc_u64 s[12:13], s[12:13], 1
	global_load_u8 v2, v3, s[30:31]
	s_wait_alu 0xfffe
	s_cmp_lg_u32 s15, s12
	s_wait_loadcnt 0x0
	v_and_b32_e32 v2, 0xffff, v2
	s_delay_alu instid0(VALU_DEP_1) | instskip(SKIP_1) | instid1(VALU_DEP_1)
	v_lshlrev_b64_e32 v[18:19], s10, v[2:3]
	s_add_nc_u64 s[10:11], s[10:11], 8
	v_or_b32_e32 v16, v18, v16
	s_delay_alu instid0(VALU_DEP_2)
	v_or_b32_e32 v17, v19, v17
	s_cbranch_scc1 .LBB7_466
.LBB7_467:                              ;   in Loop: Header=BB7_435 Depth=1
	s_mov_b64 s[10:11], s[0:1]
	s_mov_b32 s14, 0
	s_cbranch_execz .LBB7_469
	s_branch .LBB7_470
.LBB7_468:                              ;   in Loop: Header=BB7_435 Depth=1
	s_add_nc_u64 s[10:11], s[0:1], 8
	s_mov_b32 s14, 0
.LBB7_469:                              ;   in Loop: Header=BB7_435 Depth=1
	global_load_b64 v[16:17], v3, s[0:1]
	s_add_co_i32 s14, s15, -8
.LBB7_470:                              ;   in Loop: Header=BB7_435 Depth=1
	s_wait_alu 0xfffe
	s_cmp_gt_u32 s14, 7
	s_cbranch_scc1 .LBB7_475
; %bb.471:                              ;   in Loop: Header=BB7_435 Depth=1
	v_mov_b32_e32 v18, 0
	v_mov_b32_e32 v19, 0
	s_cmp_eq_u32 s14, 0
	s_cbranch_scc1 .LBB7_474
; %bb.472:                              ;   in Loop: Header=BB7_435 Depth=1
	s_mov_b64 s[0:1], 0
	s_mov_b64 s[12:13], 0
.LBB7_473:                              ;   Parent Loop BB7_435 Depth=1
                                        ; =>  This Inner Loop Header: Depth=2
	s_wait_alu 0xfffe
	s_add_nc_u64 s[30:31], s[10:11], s[12:13]
	s_add_nc_u64 s[12:13], s[12:13], 1
	global_load_u8 v2, v3, s[30:31]
	s_wait_alu 0xfffe
	s_cmp_lg_u32 s14, s12
	s_wait_loadcnt 0x0
	v_and_b32_e32 v2, 0xffff, v2
	s_delay_alu instid0(VALU_DEP_1) | instskip(SKIP_1) | instid1(VALU_DEP_1)
	v_lshlrev_b64_e32 v[20:21], s0, v[2:3]
	s_add_nc_u64 s[0:1], s[0:1], 8
	v_or_b32_e32 v18, v20, v18
	s_delay_alu instid0(VALU_DEP_2)
	v_or_b32_e32 v19, v21, v19
	s_cbranch_scc1 .LBB7_473
.LBB7_474:                              ;   in Loop: Header=BB7_435 Depth=1
	s_mov_b64 s[0:1], s[10:11]
	s_mov_b32 s15, 0
	s_cbranch_execz .LBB7_476
	s_branch .LBB7_477
.LBB7_475:                              ;   in Loop: Header=BB7_435 Depth=1
	s_add_nc_u64 s[0:1], s[10:11], 8
                                        ; implicit-def: $vgpr18_vgpr19
	s_mov_b32 s15, 0
.LBB7_476:                              ;   in Loop: Header=BB7_435 Depth=1
	global_load_b64 v[18:19], v3, s[10:11]
	s_add_co_i32 s15, s14, -8
.LBB7_477:                              ;   in Loop: Header=BB7_435 Depth=1
	s_wait_alu 0xfffe
	s_cmp_gt_u32 s15, 7
	s_cbranch_scc1 .LBB7_482
; %bb.478:                              ;   in Loop: Header=BB7_435 Depth=1
	v_mov_b32_e32 v20, 0
	v_mov_b32_e32 v21, 0
	s_cmp_eq_u32 s15, 0
	s_cbranch_scc1 .LBB7_481
; %bb.479:                              ;   in Loop: Header=BB7_435 Depth=1
	s_mov_b64 s[10:11], 0
	s_mov_b64 s[12:13], s[0:1]
.LBB7_480:                              ;   Parent Loop BB7_435 Depth=1
                                        ; =>  This Inner Loop Header: Depth=2
	global_load_u8 v2, v3, s[12:13]
	s_add_co_i32 s15, s15, -1
	s_wait_alu 0xfffe
	s_add_nc_u64 s[12:13], s[12:13], 1
	s_cmp_lg_u32 s15, 0
	s_wait_loadcnt 0x0
	v_and_b32_e32 v2, 0xffff, v2
	s_delay_alu instid0(VALU_DEP_1) | instskip(SKIP_1) | instid1(VALU_DEP_1)
	v_lshlrev_b64_e32 v[22:23], s10, v[2:3]
	s_add_nc_u64 s[10:11], s[10:11], 8
	v_or_b32_e32 v20, v22, v20
	s_delay_alu instid0(VALU_DEP_2)
	v_or_b32_e32 v21, v23, v21
	s_cbranch_scc1 .LBB7_480
.LBB7_481:                              ;   in Loop: Header=BB7_435 Depth=1
	s_cbranch_execz .LBB7_483
	s_branch .LBB7_484
.LBB7_482:                              ;   in Loop: Header=BB7_435 Depth=1
.LBB7_483:                              ;   in Loop: Header=BB7_435 Depth=1
	global_load_b64 v[20:21], v3, s[0:1]
.LBB7_484:                              ;   in Loop: Header=BB7_435 Depth=1
	v_readfirstlane_b32 s0, v31
	v_mov_b32_e32 v26, 0
	v_mov_b32_e32 v27, 0
	s_wait_alu 0xf1ff
	s_delay_alu instid0(VALU_DEP_3)
	v_cmp_eq_u32_e64 s0, s0, v31
	s_and_saveexec_b32 s1, s0
	s_cbranch_execz .LBB7_490
; %bb.485:                              ;   in Loop: Header=BB7_435 Depth=1
	global_load_b64 v[24:25], v3, s[2:3] offset:24 scope:SCOPE_SYS
	s_wait_loadcnt 0x0
	global_inv scope:SCOPE_SYS
	s_clause 0x1
	global_load_b64 v[22:23], v3, s[2:3] offset:40
	global_load_b64 v[26:27], v3, s[2:3]
	s_mov_b32 s10, exec_lo
	s_wait_loadcnt 0x1
	v_and_b32_e32 v2, v23, v25
	v_and_b32_e32 v22, v22, v24
	s_delay_alu instid0(VALU_DEP_2) | instskip(NEXT) | instid1(VALU_DEP_2)
	v_mul_lo_u32 v2, 24, v2
	v_mul_lo_u32 v23, 0, v22
	v_mul_hi_u32 v28, 24, v22
	v_mul_lo_u32 v22, 24, v22
	s_delay_alu instid0(VALU_DEP_3) | instskip(SKIP_1) | instid1(VALU_DEP_2)
	v_add_nc_u32_e32 v2, v2, v23
	s_wait_loadcnt 0x0
	v_add_co_u32 v22, vcc_lo, v26, v22
	s_delay_alu instid0(VALU_DEP_2) | instskip(SKIP_1) | instid1(VALU_DEP_1)
	v_add_nc_u32_e32 v2, v2, v28
	s_wait_alu 0xfffd
	v_add_co_ci_u32_e64 v23, null, v27, v2, vcc_lo
	global_load_b64 v[22:23], v[22:23], off scope:SCOPE_SYS
	s_wait_loadcnt 0x0
	global_atomic_cmpswap_b64 v[26:27], v3, v[22:25], s[2:3] offset:24 th:TH_ATOMIC_RETURN scope:SCOPE_SYS
	s_wait_loadcnt 0x0
	global_inv scope:SCOPE_SYS
	v_cmpx_ne_u64_e64 v[26:27], v[24:25]
	s_cbranch_execz .LBB7_489
; %bb.486:                              ;   in Loop: Header=BB7_435 Depth=1
	s_mov_b32 s11, 0
.LBB7_487:                              ;   Parent Loop BB7_435 Depth=1
                                        ; =>  This Inner Loop Header: Depth=2
	s_sleep 1
	s_clause 0x1
	global_load_b64 v[22:23], v3, s[2:3] offset:40
	global_load_b64 v[28:29], v3, s[2:3]
	v_dual_mov_b32 v24, v26 :: v_dual_mov_b32 v25, v27
	s_wait_loadcnt 0x1
	s_delay_alu instid0(VALU_DEP_1) | instskip(NEXT) | instid1(VALU_DEP_2)
	v_and_b32_e32 v2, v22, v24
	v_and_b32_e32 v22, v23, v25
	s_wait_loadcnt 0x0
	s_delay_alu instid0(VALU_DEP_2) | instskip(NEXT) | instid1(VALU_DEP_1)
	v_mad_co_u64_u32 v[26:27], null, v2, 24, v[28:29]
	v_mov_b32_e32 v2, v27
	s_delay_alu instid0(VALU_DEP_1) | instskip(NEXT) | instid1(VALU_DEP_1)
	v_mad_co_u64_u32 v[22:23], null, v22, 24, v[2:3]
	v_mov_b32_e32 v27, v22
	global_load_b64 v[22:23], v[26:27], off scope:SCOPE_SYS
	s_wait_loadcnt 0x0
	global_atomic_cmpswap_b64 v[26:27], v3, v[22:25], s[2:3] offset:24 th:TH_ATOMIC_RETURN scope:SCOPE_SYS
	s_wait_loadcnt 0x0
	global_inv scope:SCOPE_SYS
	v_cmp_eq_u64_e32 vcc_lo, v[26:27], v[24:25]
	s_wait_alu 0xfffe
	s_or_b32 s11, vcc_lo, s11
	s_wait_alu 0xfffe
	s_and_not1_b32 exec_lo, exec_lo, s11
	s_cbranch_execnz .LBB7_487
; %bb.488:                              ;   in Loop: Header=BB7_435 Depth=1
	s_or_b32 exec_lo, exec_lo, s11
.LBB7_489:                              ;   in Loop: Header=BB7_435 Depth=1
	s_wait_alu 0xfffe
	s_or_b32 exec_lo, exec_lo, s10
.LBB7_490:                              ;   in Loop: Header=BB7_435 Depth=1
	s_wait_alu 0xfffe
	s_or_b32 exec_lo, exec_lo, s1
	s_clause 0x1
	global_load_b64 v[28:29], v3, s[2:3] offset:40
	global_load_b128 v[22:25], v3, s[2:3]
	v_readfirstlane_b32 s11, v27
	v_readfirstlane_b32 s10, v26
	s_mov_b32 s1, exec_lo
	s_wait_loadcnt 0x1
	s_wait_alu 0xf1ff
	v_and_b32_e32 v29, s11, v29
	v_and_b32_e32 v28, s10, v28
	s_delay_alu instid0(VALU_DEP_2) | instskip(NEXT) | instid1(VALU_DEP_2)
	v_mul_lo_u32 v2, 24, v29
	v_mul_lo_u32 v26, 0, v28
	v_mul_hi_u32 v27, 24, v28
	v_mul_lo_u32 v32, 24, v28
	s_delay_alu instid0(VALU_DEP_3) | instskip(SKIP_1) | instid1(VALU_DEP_2)
	v_add_nc_u32_e32 v2, v2, v26
	s_wait_loadcnt 0x0
	v_add_co_u32 v26, vcc_lo, v22, v32
	s_delay_alu instid0(VALU_DEP_2) | instskip(SKIP_1) | instid1(VALU_DEP_1)
	v_add_nc_u32_e32 v2, v2, v27
	s_wait_alu 0xfffd
	v_add_co_ci_u32_e64 v27, null, v23, v2, vcc_lo
	s_and_saveexec_b32 s12, s0
	s_cbranch_execz .LBB7_492
; %bb.491:                              ;   in Loop: Header=BB7_435 Depth=1
	s_wait_alu 0xfffe
	v_mov_b32_e32 v2, s1
	global_store_b128 v[26:27], v[2:5], off offset:8
.LBB7_492:                              ;   in Loop: Header=BB7_435 Depth=1
	s_wait_alu 0xfffe
	s_or_b32 exec_lo, exec_lo, s12
	v_cmp_gt_u64_e64 s1, s[6:7], 56
	v_lshlrev_b64_e32 v[28:29], 12, v[28:29]
	v_and_b32_e32 v2, 0xffffff1f, v6
	s_and_b32 s1, s1, exec_lo
	s_delay_alu instid0(VALU_DEP_2)
	v_add_co_u32 v24, vcc_lo, v24, v28
	s_cselect_b32 s1, 0, 2
	s_wait_alu 0xfffd
	v_add_co_ci_u32_e64 v25, null, v25, v29, vcc_lo
	s_wait_alu 0xfffe
	v_or_b32_e32 v2, s1, v2
	s_lshl_b32 s12, s8, 2
	s_wait_alu 0xfffe
	s_add_co_i32 s1, s12, 28
	v_readfirstlane_b32 s12, v24
	v_readfirstlane_b32 s13, v25
	s_wait_alu 0xfffe
	v_and_or_b32 v6, 0x1e0, s1, v2
	s_clause 0x3
	global_store_b128 v30, v[6:9], s[12:13]
	global_store_b128 v30, v[10:13], s[12:13] offset:16
	global_store_b128 v30, v[14:17], s[12:13] offset:32
	;; [unrolled: 1-line block ×3, first 2 shown]
	s_and_saveexec_b32 s1, s0
	s_cbranch_execz .LBB7_500
; %bb.493:                              ;   in Loop: Header=BB7_435 Depth=1
	s_clause 0x1
	global_load_b64 v[14:15], v3, s[2:3] offset:32 scope:SCOPE_SYS
	global_load_b64 v[6:7], v3, s[2:3] offset:40
	v_mov_b32_e32 v12, s10
	s_mov_b32 s12, exec_lo
	s_wait_loadcnt 0x0
	v_dual_mov_b32 v13, s11 :: v_dual_and_b32 v2, s11, v7
	v_and_b32_e32 v6, s10, v6
	s_delay_alu instid0(VALU_DEP_2) | instskip(NEXT) | instid1(VALU_DEP_2)
	v_mul_lo_u32 v2, 24, v2
	v_mul_lo_u32 v7, 0, v6
	v_mul_hi_u32 v8, 24, v6
	v_mul_lo_u32 v6, 24, v6
	s_delay_alu instid0(VALU_DEP_3) | instskip(NEXT) | instid1(VALU_DEP_2)
	v_add_nc_u32_e32 v2, v2, v7
	v_add_co_u32 v10, vcc_lo, v22, v6
	s_delay_alu instid0(VALU_DEP_2) | instskip(SKIP_1) | instid1(VALU_DEP_1)
	v_add_nc_u32_e32 v2, v2, v8
	s_wait_alu 0xfffd
	v_add_co_ci_u32_e64 v11, null, v23, v2, vcc_lo
	global_store_b64 v[10:11], v[14:15], off
	global_wb scope:SCOPE_SYS
	s_wait_storecnt 0x0
	global_atomic_cmpswap_b64 v[8:9], v3, v[12:15], s[2:3] offset:32 th:TH_ATOMIC_RETURN scope:SCOPE_SYS
	s_wait_loadcnt 0x0
	v_cmpx_ne_u64_e64 v[8:9], v[14:15]
	s_cbranch_execz .LBB7_496
; %bb.494:                              ;   in Loop: Header=BB7_435 Depth=1
	s_mov_b32 s13, 0
.LBB7_495:                              ;   Parent Loop BB7_435 Depth=1
                                        ; =>  This Inner Loop Header: Depth=2
	v_dual_mov_b32 v6, s10 :: v_dual_mov_b32 v7, s11
	s_sleep 1
	global_store_b64 v[10:11], v[8:9], off
	global_wb scope:SCOPE_SYS
	s_wait_storecnt 0x0
	global_atomic_cmpswap_b64 v[6:7], v3, v[6:9], s[2:3] offset:32 th:TH_ATOMIC_RETURN scope:SCOPE_SYS
	s_wait_loadcnt 0x0
	v_cmp_eq_u64_e32 vcc_lo, v[6:7], v[8:9]
	v_dual_mov_b32 v9, v7 :: v_dual_mov_b32 v8, v6
	s_wait_alu 0xfffe
	s_or_b32 s13, vcc_lo, s13
	s_wait_alu 0xfffe
	s_and_not1_b32 exec_lo, exec_lo, s13
	s_cbranch_execnz .LBB7_495
.LBB7_496:                              ;   in Loop: Header=BB7_435 Depth=1
	s_wait_alu 0xfffe
	s_or_b32 exec_lo, exec_lo, s12
	global_load_b64 v[6:7], v3, s[2:3] offset:16
	s_mov_b32 s13, exec_lo
	s_mov_b32 s12, exec_lo
	s_wait_alu 0xfffe
	v_mbcnt_lo_u32_b32 v2, s13, 0
	s_delay_alu instid0(VALU_DEP_1)
	v_cmpx_eq_u32_e32 0, v2
	s_cbranch_execz .LBB7_498
; %bb.497:                              ;   in Loop: Header=BB7_435 Depth=1
	s_bcnt1_i32_b32 s13, s13
	s_wait_alu 0xfffe
	v_mov_b32_e32 v2, s13
	global_wb scope:SCOPE_SYS
	s_wait_loadcnt 0x0
	s_wait_storecnt 0x0
	global_atomic_add_u64 v[6:7], v[2:3], off offset:8 scope:SCOPE_SYS
.LBB7_498:                              ;   in Loop: Header=BB7_435 Depth=1
	s_or_b32 exec_lo, exec_lo, s12
	s_wait_loadcnt 0x0
	global_load_b64 v[8:9], v[6:7], off offset:16
	s_wait_loadcnt 0x0
	v_cmp_eq_u64_e32 vcc_lo, 0, v[8:9]
	s_cbranch_vccnz .LBB7_500
; %bb.499:                              ;   in Loop: Header=BB7_435 Depth=1
	global_load_b32 v2, v[6:7], off offset:24
	s_wait_loadcnt 0x0
	v_readfirstlane_b32 s12, v2
	global_wb scope:SCOPE_SYS
	s_wait_storecnt 0x0
	global_store_b64 v[8:9], v[2:3], off scope:SCOPE_SYS
	s_and_b32 m0, s12, 0xffffff
	s_sendmsg sendmsg(MSG_INTERRUPT)
.LBB7_500:                              ;   in Loop: Header=BB7_435 Depth=1
	s_wait_alu 0xfffe
	s_or_b32 exec_lo, exec_lo, s1
	v_add_co_u32 v6, vcc_lo, v24, v30
	s_wait_alu 0xfffd
	v_add_co_ci_u32_e64 v7, null, 0, v25, vcc_lo
	s_branch .LBB7_504
.LBB7_501:                              ;   in Loop: Header=BB7_504 Depth=2
	s_wait_alu 0xfffe
	s_or_b32 exec_lo, exec_lo, s1
	s_delay_alu instid0(VALU_DEP_1)
	v_readfirstlane_b32 s1, v2
	s_cmp_eq_u32 s1, 0
	s_cbranch_scc1 .LBB7_503
; %bb.502:                              ;   in Loop: Header=BB7_504 Depth=2
	s_sleep 1
	s_cbranch_execnz .LBB7_504
	s_branch .LBB7_506
.LBB7_503:                              ;   in Loop: Header=BB7_435 Depth=1
	s_branch .LBB7_506
.LBB7_504:                              ;   Parent Loop BB7_435 Depth=1
                                        ; =>  This Inner Loop Header: Depth=2
	v_mov_b32_e32 v2, 1
	s_and_saveexec_b32 s1, s0
	s_cbranch_execz .LBB7_501
; %bb.505:                              ;   in Loop: Header=BB7_504 Depth=2
	global_load_b32 v2, v[26:27], off offset:20 scope:SCOPE_SYS
	s_wait_loadcnt 0x0
	global_inv scope:SCOPE_SYS
	v_and_b32_e32 v2, 1, v2
	s_branch .LBB7_501
.LBB7_506:                              ;   in Loop: Header=BB7_435 Depth=1
	global_load_b128 v[6:9], v[6:7], off
	s_and_saveexec_b32 s12, s0
	s_cbranch_execz .LBB7_434
; %bb.507:                              ;   in Loop: Header=BB7_435 Depth=1
	s_wait_loadcnt 0x0
	s_clause 0x2
	global_load_b64 v[8:9], v3, s[2:3] offset:40
	global_load_b64 v[16:17], v3, s[2:3] offset:24 scope:SCOPE_SYS
	global_load_b64 v[10:11], v3, s[2:3]
	s_wait_loadcnt 0x2
	v_readfirstlane_b32 s14, v8
	v_readfirstlane_b32 s15, v9
	s_add_nc_u64 s[0:1], s[14:15], 1
	s_wait_alu 0xfffe
	s_add_nc_u64 s[10:11], s[0:1], s[10:11]
	s_wait_alu 0xfffe
	s_cmp_eq_u64 s[10:11], 0
	s_cselect_b32 s1, s1, s11
	s_cselect_b32 s0, s0, s10
	s_wait_alu 0xfffe
	v_dual_mov_b32 v15, s1 :: v_dual_mov_b32 v14, s0
	s_and_b64 s[10:11], s[0:1], s[14:15]
	s_wait_alu 0xfffe
	s_mul_u64 s[10:11], s[10:11], 24
	s_wait_loadcnt 0x0
	s_wait_alu 0xfffe
	v_add_co_u32 v12, vcc_lo, v10, s10
	s_wait_alu 0xfffd
	v_add_co_ci_u32_e64 v13, null, s11, v11, vcc_lo
	global_store_b64 v[12:13], v[16:17], off
	global_wb scope:SCOPE_SYS
	s_wait_storecnt 0x0
	global_atomic_cmpswap_b64 v[10:11], v3, v[14:17], s[2:3] offset:24 th:TH_ATOMIC_RETURN scope:SCOPE_SYS
	s_wait_loadcnt 0x0
	v_cmp_ne_u64_e32 vcc_lo, v[10:11], v[16:17]
	s_and_b32 exec_lo, exec_lo, vcc_lo
	s_cbranch_execz .LBB7_434
; %bb.508:                              ;   in Loop: Header=BB7_435 Depth=1
	s_mov_b32 s10, 0
.LBB7_509:                              ;   Parent Loop BB7_435 Depth=1
                                        ; =>  This Inner Loop Header: Depth=2
	v_dual_mov_b32 v8, s0 :: v_dual_mov_b32 v9, s1
	s_sleep 1
	global_store_b64 v[12:13], v[10:11], off
	global_wb scope:SCOPE_SYS
	s_wait_storecnt 0x0
	global_atomic_cmpswap_b64 v[8:9], v3, v[8:11], s[2:3] offset:24 th:TH_ATOMIC_RETURN scope:SCOPE_SYS
	s_wait_loadcnt 0x0
	v_cmp_eq_u64_e32 vcc_lo, v[8:9], v[10:11]
	v_dual_mov_b32 v11, v9 :: v_dual_mov_b32 v10, v8
	s_wait_alu 0xfffe
	s_or_b32 s10, vcc_lo, s10
	s_wait_alu 0xfffe
	s_and_not1_b32 exec_lo, exec_lo, s10
	s_cbranch_execnz .LBB7_509
	s_branch .LBB7_434
.LBB7_510:
	global_load_b64 v[0:1], v[10:11], off
	s_and_saveexec_b32 s6, s0
	s_cbranch_execz .LBB7_514
; %bb.511:
	v_mov_b32_e32 v8, 0
	s_clause 0x2
	global_load_b64 v[2:3], v8, s[2:3] offset:40
	global_load_b64 v[11:12], v8, s[2:3] offset:24 scope:SCOPE_SYS
	global_load_b64 v[4:5], v8, s[2:3]
	s_wait_loadcnt 0x2
	v_readfirstlane_b32 s8, v2
	v_readfirstlane_b32 s9, v3
	s_add_nc_u64 s[0:1], s[8:9], 1
	s_wait_alu 0xfffe
	s_add_nc_u64 s[4:5], s[0:1], s[4:5]
	s_wait_alu 0xfffe
	s_cmp_eq_u64 s[4:5], 0
	s_cselect_b32 s1, s1, s5
	s_cselect_b32 s0, s0, s4
	s_wait_alu 0xfffe
	v_mov_b32_e32 v10, s1
	s_and_b64 s[4:5], s[0:1], s[8:9]
	v_mov_b32_e32 v9, s0
	s_wait_alu 0xfffe
	s_mul_u64 s[4:5], s[4:5], 24
	s_wait_loadcnt 0x0
	s_wait_alu 0xfffe
	v_add_co_u32 v6, vcc_lo, v4, s4
	s_wait_alu 0xfffd
	v_add_co_ci_u32_e64 v7, null, s5, v5, vcc_lo
	global_store_b64 v[6:7], v[11:12], off
	global_wb scope:SCOPE_SYS
	s_wait_storecnt 0x0
	global_atomic_cmpswap_b64 v[4:5], v8, v[9:12], s[2:3] offset:24 th:TH_ATOMIC_RETURN scope:SCOPE_SYS
	s_wait_loadcnt 0x0
	v_cmp_ne_u64_e32 vcc_lo, v[4:5], v[11:12]
	s_and_b32 exec_lo, exec_lo, vcc_lo
	s_cbranch_execz .LBB7_514
; %bb.512:
	s_mov_b32 s4, 0
.LBB7_513:                              ; =>This Inner Loop Header: Depth=1
	v_dual_mov_b32 v2, s0 :: v_dual_mov_b32 v3, s1
	s_sleep 1
	global_store_b64 v[6:7], v[4:5], off
	global_wb scope:SCOPE_SYS
	s_wait_storecnt 0x0
	global_atomic_cmpswap_b64 v[2:3], v8, v[2:5], s[2:3] offset:24 th:TH_ATOMIC_RETURN scope:SCOPE_SYS
	s_wait_loadcnt 0x0
	v_cmp_eq_u64_e32 vcc_lo, v[2:3], v[4:5]
	v_dual_mov_b32 v5, v3 :: v_dual_mov_b32 v4, v2
	s_wait_alu 0xfffe
	s_or_b32 s4, vcc_lo, s4
	s_wait_alu 0xfffe
	s_and_not1_b32 exec_lo, exec_lo, s4
	s_cbranch_execnz .LBB7_513
.LBB7_514:
	s_wait_alu 0xfffe
	s_or_b32 exec_lo, exec_lo, s6
	s_getpc_b64 s[4:5]
	s_wait_alu 0xfffe
	s_sext_i32_i16 s5, s5
	s_add_co_u32 s4, s4, .str.28@rel32@lo+12
	s_wait_alu 0xfffe
	s_add_co_ci_u32 s5, s5, .str.28@rel32@hi+24
	s_wait_alu 0xfffe
	s_cmp_lg_u64 s[4:5], 0
	s_cbranch_scc0 .LBB7_708
; %bb.515:
	s_wait_loadcnt 0x0
	v_dual_mov_b32 v7, v1 :: v_dual_and_b32 v6, -3, v0
	v_dual_mov_b32 v3, 0 :: v_dual_mov_b32 v4, 2
	v_mov_b32_e32 v5, 1
	s_mov_b64 s[6:7], 35
	s_branch .LBB7_517
.LBB7_516:                              ;   in Loop: Header=BB7_517 Depth=1
	s_wait_alu 0xfffe
	s_or_b32 exec_lo, exec_lo, s12
	s_sub_nc_u64 s[6:7], s[6:7], s[8:9]
	s_add_nc_u64 s[4:5], s[4:5], s[8:9]
	s_wait_alu 0xfffe
	s_cmp_lg_u64 s[6:7], 0
	s_cbranch_scc0 .LBB7_675
.LBB7_517:                              ; =>This Loop Header: Depth=1
                                        ;     Child Loop BB7_520 Depth 2
                                        ;     Child Loop BB7_527 Depth 2
	;; [unrolled: 1-line block ×11, first 2 shown]
	s_wait_alu 0xfffe
	v_cmp_lt_u64_e64 s0, s[6:7], 56
	v_cmp_gt_u64_e64 s1, s[6:7], 7
	s_and_b32 s0, s0, exec_lo
	s_cselect_b32 s9, s7, 0
	s_cselect_b32 s8, s6, 56
	s_and_b32 vcc_lo, exec_lo, s1
	s_wait_alu 0xfffe
	s_cbranch_vccnz .LBB7_522
; %bb.518:                              ;   in Loop: Header=BB7_517 Depth=1
	s_wait_loadcnt 0x0
	v_mov_b32_e32 v8, 0
	v_mov_b32_e32 v9, 0
	s_cmp_eq_u64 s[6:7], 0
	s_cbranch_scc1 .LBB7_521
; %bb.519:                              ;   in Loop: Header=BB7_517 Depth=1
	s_mov_b64 s[0:1], 0
	s_mov_b64 s[10:11], 0
.LBB7_520:                              ;   Parent Loop BB7_517 Depth=1
                                        ; =>  This Inner Loop Header: Depth=2
	s_wait_alu 0xfffe
	s_add_nc_u64 s[12:13], s[4:5], s[10:11]
	s_add_nc_u64 s[10:11], s[10:11], 1
	global_load_u8 v2, v3, s[12:13]
	s_wait_alu 0xfffe
	s_cmp_lg_u32 s8, s10
	s_wait_loadcnt 0x0
	v_and_b32_e32 v2, 0xffff, v2
	s_delay_alu instid0(VALU_DEP_1) | instskip(SKIP_1) | instid1(VALU_DEP_1)
	v_lshlrev_b64_e32 v[10:11], s0, v[2:3]
	s_add_nc_u64 s[0:1], s[0:1], 8
	v_or_b32_e32 v8, v10, v8
	s_delay_alu instid0(VALU_DEP_2)
	v_or_b32_e32 v9, v11, v9
	s_cbranch_scc1 .LBB7_520
.LBB7_521:                              ;   in Loop: Header=BB7_517 Depth=1
	s_mov_b64 s[10:11], s[4:5]
	s_mov_b32 s14, 0
	s_cbranch_execz .LBB7_523
	s_branch .LBB7_524
.LBB7_522:                              ;   in Loop: Header=BB7_517 Depth=1
	s_add_nc_u64 s[10:11], s[4:5], 8
	s_mov_b32 s14, 0
.LBB7_523:                              ;   in Loop: Header=BB7_517 Depth=1
	s_wait_loadcnt 0x0
	global_load_b64 v[8:9], v3, s[4:5]
	s_add_co_i32 s14, s8, -8
.LBB7_524:                              ;   in Loop: Header=BB7_517 Depth=1
	s_wait_alu 0xfffe
	s_cmp_gt_u32 s14, 7
	s_cbranch_scc1 .LBB7_529
; %bb.525:                              ;   in Loop: Header=BB7_517 Depth=1
	v_mov_b32_e32 v10, 0
	v_mov_b32_e32 v11, 0
	s_cmp_eq_u32 s14, 0
	s_cbranch_scc1 .LBB7_528
; %bb.526:                              ;   in Loop: Header=BB7_517 Depth=1
	s_mov_b64 s[0:1], 0
	s_mov_b64 s[12:13], 0
.LBB7_527:                              ;   Parent Loop BB7_517 Depth=1
                                        ; =>  This Inner Loop Header: Depth=2
	s_wait_alu 0xfffe
	s_add_nc_u64 s[30:31], s[10:11], s[12:13]
	s_add_nc_u64 s[12:13], s[12:13], 1
	global_load_u8 v2, v3, s[30:31]
	s_wait_alu 0xfffe
	s_cmp_lg_u32 s14, s12
	s_wait_loadcnt 0x0
	v_and_b32_e32 v2, 0xffff, v2
	s_delay_alu instid0(VALU_DEP_1) | instskip(SKIP_1) | instid1(VALU_DEP_1)
	v_lshlrev_b64_e32 v[12:13], s0, v[2:3]
	s_add_nc_u64 s[0:1], s[0:1], 8
	v_or_b32_e32 v10, v12, v10
	s_delay_alu instid0(VALU_DEP_2)
	v_or_b32_e32 v11, v13, v11
	s_cbranch_scc1 .LBB7_527
.LBB7_528:                              ;   in Loop: Header=BB7_517 Depth=1
	s_mov_b64 s[0:1], s[10:11]
	s_mov_b32 s15, 0
	s_cbranch_execz .LBB7_530
	s_branch .LBB7_531
.LBB7_529:                              ;   in Loop: Header=BB7_517 Depth=1
	s_add_nc_u64 s[0:1], s[10:11], 8
                                        ; implicit-def: $vgpr10_vgpr11
	s_mov_b32 s15, 0
.LBB7_530:                              ;   in Loop: Header=BB7_517 Depth=1
	global_load_b64 v[10:11], v3, s[10:11]
	s_add_co_i32 s15, s14, -8
.LBB7_531:                              ;   in Loop: Header=BB7_517 Depth=1
	s_wait_alu 0xfffe
	s_cmp_gt_u32 s15, 7
	s_cbranch_scc1 .LBB7_536
; %bb.532:                              ;   in Loop: Header=BB7_517 Depth=1
	v_mov_b32_e32 v12, 0
	v_mov_b32_e32 v13, 0
	s_cmp_eq_u32 s15, 0
	s_cbranch_scc1 .LBB7_535
; %bb.533:                              ;   in Loop: Header=BB7_517 Depth=1
	s_mov_b64 s[10:11], 0
	s_mov_b64 s[12:13], 0
.LBB7_534:                              ;   Parent Loop BB7_517 Depth=1
                                        ; =>  This Inner Loop Header: Depth=2
	s_wait_alu 0xfffe
	s_add_nc_u64 s[30:31], s[0:1], s[12:13]
	s_add_nc_u64 s[12:13], s[12:13], 1
	global_load_u8 v2, v3, s[30:31]
	s_wait_alu 0xfffe
	s_cmp_lg_u32 s15, s12
	s_wait_loadcnt 0x0
	v_and_b32_e32 v2, 0xffff, v2
	s_delay_alu instid0(VALU_DEP_1) | instskip(SKIP_1) | instid1(VALU_DEP_1)
	v_lshlrev_b64_e32 v[14:15], s10, v[2:3]
	s_add_nc_u64 s[10:11], s[10:11], 8
	v_or_b32_e32 v12, v14, v12
	s_delay_alu instid0(VALU_DEP_2)
	v_or_b32_e32 v13, v15, v13
	s_cbranch_scc1 .LBB7_534
.LBB7_535:                              ;   in Loop: Header=BB7_517 Depth=1
	s_mov_b64 s[10:11], s[0:1]
	s_mov_b32 s14, 0
	s_cbranch_execz .LBB7_537
	s_branch .LBB7_538
.LBB7_536:                              ;   in Loop: Header=BB7_517 Depth=1
	s_add_nc_u64 s[10:11], s[0:1], 8
	s_mov_b32 s14, 0
.LBB7_537:                              ;   in Loop: Header=BB7_517 Depth=1
	global_load_b64 v[12:13], v3, s[0:1]
	s_add_co_i32 s14, s15, -8
.LBB7_538:                              ;   in Loop: Header=BB7_517 Depth=1
	s_wait_alu 0xfffe
	s_cmp_gt_u32 s14, 7
	s_cbranch_scc1 .LBB7_543
; %bb.539:                              ;   in Loop: Header=BB7_517 Depth=1
	v_mov_b32_e32 v14, 0
	v_mov_b32_e32 v15, 0
	s_cmp_eq_u32 s14, 0
	s_cbranch_scc1 .LBB7_542
; %bb.540:                              ;   in Loop: Header=BB7_517 Depth=1
	s_mov_b64 s[0:1], 0
	s_mov_b64 s[12:13], 0
.LBB7_541:                              ;   Parent Loop BB7_517 Depth=1
                                        ; =>  This Inner Loop Header: Depth=2
	s_wait_alu 0xfffe
	s_add_nc_u64 s[30:31], s[10:11], s[12:13]
	s_add_nc_u64 s[12:13], s[12:13], 1
	global_load_u8 v2, v3, s[30:31]
	s_wait_alu 0xfffe
	s_cmp_lg_u32 s14, s12
	s_wait_loadcnt 0x0
	v_and_b32_e32 v2, 0xffff, v2
	s_delay_alu instid0(VALU_DEP_1) | instskip(SKIP_1) | instid1(VALU_DEP_1)
	v_lshlrev_b64_e32 v[16:17], s0, v[2:3]
	s_add_nc_u64 s[0:1], s[0:1], 8
	v_or_b32_e32 v14, v16, v14
	s_delay_alu instid0(VALU_DEP_2)
	v_or_b32_e32 v15, v17, v15
	s_cbranch_scc1 .LBB7_541
.LBB7_542:                              ;   in Loop: Header=BB7_517 Depth=1
	s_mov_b64 s[0:1], s[10:11]
	s_mov_b32 s15, 0
	s_cbranch_execz .LBB7_544
	s_branch .LBB7_545
.LBB7_543:                              ;   in Loop: Header=BB7_517 Depth=1
	s_add_nc_u64 s[0:1], s[10:11], 8
                                        ; implicit-def: $vgpr14_vgpr15
	s_mov_b32 s15, 0
.LBB7_544:                              ;   in Loop: Header=BB7_517 Depth=1
	global_load_b64 v[14:15], v3, s[10:11]
	s_add_co_i32 s15, s14, -8
.LBB7_545:                              ;   in Loop: Header=BB7_517 Depth=1
	s_wait_alu 0xfffe
	s_cmp_gt_u32 s15, 7
	s_cbranch_scc1 .LBB7_550
; %bb.546:                              ;   in Loop: Header=BB7_517 Depth=1
	v_mov_b32_e32 v16, 0
	v_mov_b32_e32 v17, 0
	s_cmp_eq_u32 s15, 0
	s_cbranch_scc1 .LBB7_549
; %bb.547:                              ;   in Loop: Header=BB7_517 Depth=1
	s_mov_b64 s[10:11], 0
	s_mov_b64 s[12:13], 0
.LBB7_548:                              ;   Parent Loop BB7_517 Depth=1
                                        ; =>  This Inner Loop Header: Depth=2
	s_wait_alu 0xfffe
	s_add_nc_u64 s[30:31], s[0:1], s[12:13]
	s_add_nc_u64 s[12:13], s[12:13], 1
	global_load_u8 v2, v3, s[30:31]
	s_wait_alu 0xfffe
	s_cmp_lg_u32 s15, s12
	s_wait_loadcnt 0x0
	v_and_b32_e32 v2, 0xffff, v2
	s_delay_alu instid0(VALU_DEP_1) | instskip(SKIP_1) | instid1(VALU_DEP_1)
	v_lshlrev_b64_e32 v[18:19], s10, v[2:3]
	s_add_nc_u64 s[10:11], s[10:11], 8
	v_or_b32_e32 v16, v18, v16
	s_delay_alu instid0(VALU_DEP_2)
	v_or_b32_e32 v17, v19, v17
	s_cbranch_scc1 .LBB7_548
.LBB7_549:                              ;   in Loop: Header=BB7_517 Depth=1
	s_mov_b64 s[10:11], s[0:1]
	s_mov_b32 s14, 0
	s_cbranch_execz .LBB7_551
	s_branch .LBB7_552
.LBB7_550:                              ;   in Loop: Header=BB7_517 Depth=1
	s_add_nc_u64 s[10:11], s[0:1], 8
	s_mov_b32 s14, 0
.LBB7_551:                              ;   in Loop: Header=BB7_517 Depth=1
	global_load_b64 v[16:17], v3, s[0:1]
	s_add_co_i32 s14, s15, -8
.LBB7_552:                              ;   in Loop: Header=BB7_517 Depth=1
	s_wait_alu 0xfffe
	s_cmp_gt_u32 s14, 7
	s_cbranch_scc1 .LBB7_557
; %bb.553:                              ;   in Loop: Header=BB7_517 Depth=1
	v_mov_b32_e32 v18, 0
	v_mov_b32_e32 v19, 0
	s_cmp_eq_u32 s14, 0
	s_cbranch_scc1 .LBB7_556
; %bb.554:                              ;   in Loop: Header=BB7_517 Depth=1
	s_mov_b64 s[0:1], 0
	s_mov_b64 s[12:13], 0
.LBB7_555:                              ;   Parent Loop BB7_517 Depth=1
                                        ; =>  This Inner Loop Header: Depth=2
	s_wait_alu 0xfffe
	s_add_nc_u64 s[30:31], s[10:11], s[12:13]
	s_add_nc_u64 s[12:13], s[12:13], 1
	global_load_u8 v2, v3, s[30:31]
	s_wait_alu 0xfffe
	s_cmp_lg_u32 s14, s12
	s_wait_loadcnt 0x0
	v_and_b32_e32 v2, 0xffff, v2
	s_delay_alu instid0(VALU_DEP_1) | instskip(SKIP_1) | instid1(VALU_DEP_1)
	v_lshlrev_b64_e32 v[20:21], s0, v[2:3]
	s_add_nc_u64 s[0:1], s[0:1], 8
	v_or_b32_e32 v18, v20, v18
	s_delay_alu instid0(VALU_DEP_2)
	v_or_b32_e32 v19, v21, v19
	s_cbranch_scc1 .LBB7_555
.LBB7_556:                              ;   in Loop: Header=BB7_517 Depth=1
	s_mov_b64 s[0:1], s[10:11]
	s_mov_b32 s15, 0
	s_cbranch_execz .LBB7_558
	s_branch .LBB7_559
.LBB7_557:                              ;   in Loop: Header=BB7_517 Depth=1
	s_add_nc_u64 s[0:1], s[10:11], 8
                                        ; implicit-def: $vgpr18_vgpr19
	s_mov_b32 s15, 0
.LBB7_558:                              ;   in Loop: Header=BB7_517 Depth=1
	global_load_b64 v[18:19], v3, s[10:11]
	s_add_co_i32 s15, s14, -8
.LBB7_559:                              ;   in Loop: Header=BB7_517 Depth=1
	s_wait_alu 0xfffe
	s_cmp_gt_u32 s15, 7
	s_cbranch_scc1 .LBB7_564
; %bb.560:                              ;   in Loop: Header=BB7_517 Depth=1
	v_mov_b32_e32 v20, 0
	v_mov_b32_e32 v21, 0
	s_cmp_eq_u32 s15, 0
	s_cbranch_scc1 .LBB7_563
; %bb.561:                              ;   in Loop: Header=BB7_517 Depth=1
	s_mov_b64 s[10:11], 0
	s_mov_b64 s[12:13], s[0:1]
.LBB7_562:                              ;   Parent Loop BB7_517 Depth=1
                                        ; =>  This Inner Loop Header: Depth=2
	global_load_u8 v2, v3, s[12:13]
	s_add_co_i32 s15, s15, -1
	s_wait_alu 0xfffe
	s_add_nc_u64 s[12:13], s[12:13], 1
	s_cmp_lg_u32 s15, 0
	s_wait_loadcnt 0x0
	v_and_b32_e32 v2, 0xffff, v2
	s_delay_alu instid0(VALU_DEP_1) | instskip(SKIP_1) | instid1(VALU_DEP_1)
	v_lshlrev_b64_e32 v[22:23], s10, v[2:3]
	s_add_nc_u64 s[10:11], s[10:11], 8
	v_or_b32_e32 v20, v22, v20
	s_delay_alu instid0(VALU_DEP_2)
	v_or_b32_e32 v21, v23, v21
	s_cbranch_scc1 .LBB7_562
.LBB7_563:                              ;   in Loop: Header=BB7_517 Depth=1
	s_cbranch_execz .LBB7_565
	s_branch .LBB7_566
.LBB7_564:                              ;   in Loop: Header=BB7_517 Depth=1
.LBB7_565:                              ;   in Loop: Header=BB7_517 Depth=1
	global_load_b64 v[20:21], v3, s[0:1]
.LBB7_566:                              ;   in Loop: Header=BB7_517 Depth=1
	v_readfirstlane_b32 s0, v31
	v_mov_b32_e32 v26, 0
	v_mov_b32_e32 v27, 0
	s_wait_alu 0xf1ff
	s_delay_alu instid0(VALU_DEP_3)
	v_cmp_eq_u32_e64 s0, s0, v31
	s_and_saveexec_b32 s1, s0
	s_cbranch_execz .LBB7_572
; %bb.567:                              ;   in Loop: Header=BB7_517 Depth=1
	global_load_b64 v[24:25], v3, s[2:3] offset:24 scope:SCOPE_SYS
	s_wait_loadcnt 0x0
	global_inv scope:SCOPE_SYS
	s_clause 0x1
	global_load_b64 v[22:23], v3, s[2:3] offset:40
	global_load_b64 v[26:27], v3, s[2:3]
	s_mov_b32 s10, exec_lo
	s_wait_loadcnt 0x1
	v_and_b32_e32 v2, v23, v25
	v_and_b32_e32 v22, v22, v24
	s_delay_alu instid0(VALU_DEP_2) | instskip(NEXT) | instid1(VALU_DEP_2)
	v_mul_lo_u32 v2, 24, v2
	v_mul_lo_u32 v23, 0, v22
	v_mul_hi_u32 v28, 24, v22
	v_mul_lo_u32 v22, 24, v22
	s_delay_alu instid0(VALU_DEP_3) | instskip(SKIP_1) | instid1(VALU_DEP_2)
	v_add_nc_u32_e32 v2, v2, v23
	s_wait_loadcnt 0x0
	v_add_co_u32 v22, vcc_lo, v26, v22
	s_delay_alu instid0(VALU_DEP_2) | instskip(SKIP_1) | instid1(VALU_DEP_1)
	v_add_nc_u32_e32 v2, v2, v28
	s_wait_alu 0xfffd
	v_add_co_ci_u32_e64 v23, null, v27, v2, vcc_lo
	global_load_b64 v[22:23], v[22:23], off scope:SCOPE_SYS
	s_wait_loadcnt 0x0
	global_atomic_cmpswap_b64 v[26:27], v3, v[22:25], s[2:3] offset:24 th:TH_ATOMIC_RETURN scope:SCOPE_SYS
	s_wait_loadcnt 0x0
	global_inv scope:SCOPE_SYS
	v_cmpx_ne_u64_e64 v[26:27], v[24:25]
	s_cbranch_execz .LBB7_571
; %bb.568:                              ;   in Loop: Header=BB7_517 Depth=1
	s_mov_b32 s11, 0
.LBB7_569:                              ;   Parent Loop BB7_517 Depth=1
                                        ; =>  This Inner Loop Header: Depth=2
	s_sleep 1
	s_clause 0x1
	global_load_b64 v[22:23], v3, s[2:3] offset:40
	global_load_b64 v[28:29], v3, s[2:3]
	v_dual_mov_b32 v24, v26 :: v_dual_mov_b32 v25, v27
	s_wait_loadcnt 0x1
	s_delay_alu instid0(VALU_DEP_1) | instskip(NEXT) | instid1(VALU_DEP_2)
	v_and_b32_e32 v2, v22, v24
	v_and_b32_e32 v22, v23, v25
	s_wait_loadcnt 0x0
	s_delay_alu instid0(VALU_DEP_2) | instskip(NEXT) | instid1(VALU_DEP_1)
	v_mad_co_u64_u32 v[26:27], null, v2, 24, v[28:29]
	v_mov_b32_e32 v2, v27
	s_delay_alu instid0(VALU_DEP_1) | instskip(NEXT) | instid1(VALU_DEP_1)
	v_mad_co_u64_u32 v[22:23], null, v22, 24, v[2:3]
	v_mov_b32_e32 v27, v22
	global_load_b64 v[22:23], v[26:27], off scope:SCOPE_SYS
	s_wait_loadcnt 0x0
	global_atomic_cmpswap_b64 v[26:27], v3, v[22:25], s[2:3] offset:24 th:TH_ATOMIC_RETURN scope:SCOPE_SYS
	s_wait_loadcnt 0x0
	global_inv scope:SCOPE_SYS
	v_cmp_eq_u64_e32 vcc_lo, v[26:27], v[24:25]
	s_wait_alu 0xfffe
	s_or_b32 s11, vcc_lo, s11
	s_wait_alu 0xfffe
	s_and_not1_b32 exec_lo, exec_lo, s11
	s_cbranch_execnz .LBB7_569
; %bb.570:                              ;   in Loop: Header=BB7_517 Depth=1
	s_or_b32 exec_lo, exec_lo, s11
.LBB7_571:                              ;   in Loop: Header=BB7_517 Depth=1
	s_wait_alu 0xfffe
	s_or_b32 exec_lo, exec_lo, s10
.LBB7_572:                              ;   in Loop: Header=BB7_517 Depth=1
	s_wait_alu 0xfffe
	s_or_b32 exec_lo, exec_lo, s1
	s_clause 0x1
	global_load_b64 v[28:29], v3, s[2:3] offset:40
	global_load_b128 v[22:25], v3, s[2:3]
	v_readfirstlane_b32 s11, v27
	v_readfirstlane_b32 s10, v26
	s_mov_b32 s1, exec_lo
	s_wait_loadcnt 0x1
	s_wait_alu 0xf1ff
	v_and_b32_e32 v29, s11, v29
	v_and_b32_e32 v28, s10, v28
	s_delay_alu instid0(VALU_DEP_2) | instskip(NEXT) | instid1(VALU_DEP_2)
	v_mul_lo_u32 v2, 24, v29
	v_mul_lo_u32 v26, 0, v28
	v_mul_hi_u32 v27, 24, v28
	v_mul_lo_u32 v32, 24, v28
	s_delay_alu instid0(VALU_DEP_3) | instskip(SKIP_1) | instid1(VALU_DEP_2)
	v_add_nc_u32_e32 v2, v2, v26
	s_wait_loadcnt 0x0
	v_add_co_u32 v26, vcc_lo, v22, v32
	s_delay_alu instid0(VALU_DEP_2) | instskip(SKIP_1) | instid1(VALU_DEP_1)
	v_add_nc_u32_e32 v2, v2, v27
	s_wait_alu 0xfffd
	v_add_co_ci_u32_e64 v27, null, v23, v2, vcc_lo
	s_and_saveexec_b32 s12, s0
	s_cbranch_execz .LBB7_574
; %bb.573:                              ;   in Loop: Header=BB7_517 Depth=1
	s_wait_alu 0xfffe
	v_mov_b32_e32 v2, s1
	global_store_b128 v[26:27], v[2:5], off offset:8
.LBB7_574:                              ;   in Loop: Header=BB7_517 Depth=1
	s_wait_alu 0xfffe
	s_or_b32 exec_lo, exec_lo, s12
	v_cmp_gt_u64_e64 s1, s[6:7], 56
	v_lshlrev_b64_e32 v[28:29], 12, v[28:29]
	v_and_b32_e32 v2, 0xffffff1f, v6
	s_and_b32 s1, s1, exec_lo
	s_delay_alu instid0(VALU_DEP_2)
	v_add_co_u32 v24, vcc_lo, v24, v28
	s_cselect_b32 s1, 0, 2
	s_wait_alu 0xfffd
	v_add_co_ci_u32_e64 v25, null, v25, v29, vcc_lo
	s_wait_alu 0xfffe
	v_or_b32_e32 v2, s1, v2
	s_lshl_b32 s12, s8, 2
	s_wait_alu 0xfffe
	s_add_co_i32 s1, s12, 28
	v_readfirstlane_b32 s12, v24
	v_readfirstlane_b32 s13, v25
	s_wait_alu 0xfffe
	v_and_or_b32 v6, 0x1e0, s1, v2
	s_clause 0x3
	global_store_b128 v30, v[6:9], s[12:13]
	global_store_b128 v30, v[10:13], s[12:13] offset:16
	global_store_b128 v30, v[14:17], s[12:13] offset:32
	;; [unrolled: 1-line block ×3, first 2 shown]
	s_and_saveexec_b32 s1, s0
	s_cbranch_execz .LBB7_582
; %bb.575:                              ;   in Loop: Header=BB7_517 Depth=1
	s_clause 0x1
	global_load_b64 v[14:15], v3, s[2:3] offset:32 scope:SCOPE_SYS
	global_load_b64 v[6:7], v3, s[2:3] offset:40
	v_mov_b32_e32 v12, s10
	s_mov_b32 s12, exec_lo
	s_wait_loadcnt 0x0
	v_dual_mov_b32 v13, s11 :: v_dual_and_b32 v2, s11, v7
	v_and_b32_e32 v6, s10, v6
	s_delay_alu instid0(VALU_DEP_2) | instskip(NEXT) | instid1(VALU_DEP_2)
	v_mul_lo_u32 v2, 24, v2
	v_mul_lo_u32 v7, 0, v6
	v_mul_hi_u32 v8, 24, v6
	v_mul_lo_u32 v6, 24, v6
	s_delay_alu instid0(VALU_DEP_3) | instskip(NEXT) | instid1(VALU_DEP_2)
	v_add_nc_u32_e32 v2, v2, v7
	v_add_co_u32 v10, vcc_lo, v22, v6
	s_delay_alu instid0(VALU_DEP_2) | instskip(SKIP_1) | instid1(VALU_DEP_1)
	v_add_nc_u32_e32 v2, v2, v8
	s_wait_alu 0xfffd
	v_add_co_ci_u32_e64 v11, null, v23, v2, vcc_lo
	global_store_b64 v[10:11], v[14:15], off
	global_wb scope:SCOPE_SYS
	s_wait_storecnt 0x0
	global_atomic_cmpswap_b64 v[8:9], v3, v[12:15], s[2:3] offset:32 th:TH_ATOMIC_RETURN scope:SCOPE_SYS
	s_wait_loadcnt 0x0
	v_cmpx_ne_u64_e64 v[8:9], v[14:15]
	s_cbranch_execz .LBB7_578
; %bb.576:                              ;   in Loop: Header=BB7_517 Depth=1
	s_mov_b32 s13, 0
.LBB7_577:                              ;   Parent Loop BB7_517 Depth=1
                                        ; =>  This Inner Loop Header: Depth=2
	v_dual_mov_b32 v6, s10 :: v_dual_mov_b32 v7, s11
	s_sleep 1
	global_store_b64 v[10:11], v[8:9], off
	global_wb scope:SCOPE_SYS
	s_wait_storecnt 0x0
	global_atomic_cmpswap_b64 v[6:7], v3, v[6:9], s[2:3] offset:32 th:TH_ATOMIC_RETURN scope:SCOPE_SYS
	s_wait_loadcnt 0x0
	v_cmp_eq_u64_e32 vcc_lo, v[6:7], v[8:9]
	v_dual_mov_b32 v9, v7 :: v_dual_mov_b32 v8, v6
	s_wait_alu 0xfffe
	s_or_b32 s13, vcc_lo, s13
	s_wait_alu 0xfffe
	s_and_not1_b32 exec_lo, exec_lo, s13
	s_cbranch_execnz .LBB7_577
.LBB7_578:                              ;   in Loop: Header=BB7_517 Depth=1
	s_wait_alu 0xfffe
	s_or_b32 exec_lo, exec_lo, s12
	global_load_b64 v[6:7], v3, s[2:3] offset:16
	s_mov_b32 s13, exec_lo
	s_mov_b32 s12, exec_lo
	s_wait_alu 0xfffe
	v_mbcnt_lo_u32_b32 v2, s13, 0
	s_delay_alu instid0(VALU_DEP_1)
	v_cmpx_eq_u32_e32 0, v2
	s_cbranch_execz .LBB7_580
; %bb.579:                              ;   in Loop: Header=BB7_517 Depth=1
	s_bcnt1_i32_b32 s13, s13
	s_wait_alu 0xfffe
	v_mov_b32_e32 v2, s13
	global_wb scope:SCOPE_SYS
	s_wait_loadcnt 0x0
	s_wait_storecnt 0x0
	global_atomic_add_u64 v[6:7], v[2:3], off offset:8 scope:SCOPE_SYS
.LBB7_580:                              ;   in Loop: Header=BB7_517 Depth=1
	s_or_b32 exec_lo, exec_lo, s12
	s_wait_loadcnt 0x0
	global_load_b64 v[8:9], v[6:7], off offset:16
	s_wait_loadcnt 0x0
	v_cmp_eq_u64_e32 vcc_lo, 0, v[8:9]
	s_cbranch_vccnz .LBB7_582
; %bb.581:                              ;   in Loop: Header=BB7_517 Depth=1
	global_load_b32 v2, v[6:7], off offset:24
	s_wait_loadcnt 0x0
	v_readfirstlane_b32 s12, v2
	global_wb scope:SCOPE_SYS
	s_wait_storecnt 0x0
	global_store_b64 v[8:9], v[2:3], off scope:SCOPE_SYS
	s_and_b32 m0, s12, 0xffffff
	s_sendmsg sendmsg(MSG_INTERRUPT)
.LBB7_582:                              ;   in Loop: Header=BB7_517 Depth=1
	s_wait_alu 0xfffe
	s_or_b32 exec_lo, exec_lo, s1
	v_add_co_u32 v6, vcc_lo, v24, v30
	s_wait_alu 0xfffd
	v_add_co_ci_u32_e64 v7, null, 0, v25, vcc_lo
	s_branch .LBB7_586
.LBB7_583:                              ;   in Loop: Header=BB7_586 Depth=2
	s_wait_alu 0xfffe
	s_or_b32 exec_lo, exec_lo, s1
	s_delay_alu instid0(VALU_DEP_1)
	v_readfirstlane_b32 s1, v2
	s_cmp_eq_u32 s1, 0
	s_cbranch_scc1 .LBB7_585
; %bb.584:                              ;   in Loop: Header=BB7_586 Depth=2
	s_sleep 1
	s_cbranch_execnz .LBB7_586
	s_branch .LBB7_588
.LBB7_585:                              ;   in Loop: Header=BB7_517 Depth=1
	s_branch .LBB7_588
.LBB7_586:                              ;   Parent Loop BB7_517 Depth=1
                                        ; =>  This Inner Loop Header: Depth=2
	v_mov_b32_e32 v2, 1
	s_and_saveexec_b32 s1, s0
	s_cbranch_execz .LBB7_583
; %bb.587:                              ;   in Loop: Header=BB7_586 Depth=2
	global_load_b32 v2, v[26:27], off offset:20 scope:SCOPE_SYS
	s_wait_loadcnt 0x0
	global_inv scope:SCOPE_SYS
	v_and_b32_e32 v2, 1, v2
	s_branch .LBB7_583
.LBB7_588:                              ;   in Loop: Header=BB7_517 Depth=1
	global_load_b128 v[6:9], v[6:7], off
	s_and_saveexec_b32 s12, s0
	s_cbranch_execz .LBB7_516
; %bb.589:                              ;   in Loop: Header=BB7_517 Depth=1
	s_wait_loadcnt 0x0
	s_clause 0x2
	global_load_b64 v[8:9], v3, s[2:3] offset:40
	global_load_b64 v[16:17], v3, s[2:3] offset:24 scope:SCOPE_SYS
	global_load_b64 v[10:11], v3, s[2:3]
	s_wait_loadcnt 0x2
	v_readfirstlane_b32 s14, v8
	v_readfirstlane_b32 s15, v9
	s_add_nc_u64 s[0:1], s[14:15], 1
	s_wait_alu 0xfffe
	s_add_nc_u64 s[10:11], s[0:1], s[10:11]
	s_wait_alu 0xfffe
	s_cmp_eq_u64 s[10:11], 0
	s_cselect_b32 s1, s1, s11
	s_cselect_b32 s0, s0, s10
	s_wait_alu 0xfffe
	v_dual_mov_b32 v15, s1 :: v_dual_mov_b32 v14, s0
	s_and_b64 s[10:11], s[0:1], s[14:15]
	s_wait_alu 0xfffe
	s_mul_u64 s[10:11], s[10:11], 24
	s_wait_loadcnt 0x0
	s_wait_alu 0xfffe
	v_add_co_u32 v12, vcc_lo, v10, s10
	s_wait_alu 0xfffd
	v_add_co_ci_u32_e64 v13, null, s11, v11, vcc_lo
	global_store_b64 v[12:13], v[16:17], off
	global_wb scope:SCOPE_SYS
	s_wait_storecnt 0x0
	global_atomic_cmpswap_b64 v[10:11], v3, v[14:17], s[2:3] offset:24 th:TH_ATOMIC_RETURN scope:SCOPE_SYS
	s_wait_loadcnt 0x0
	v_cmp_ne_u64_e32 vcc_lo, v[10:11], v[16:17]
	s_and_b32 exec_lo, exec_lo, vcc_lo
	s_cbranch_execz .LBB7_516
; %bb.590:                              ;   in Loop: Header=BB7_517 Depth=1
	s_mov_b32 s10, 0
.LBB7_591:                              ;   Parent Loop BB7_517 Depth=1
                                        ; =>  This Inner Loop Header: Depth=2
	v_dual_mov_b32 v8, s0 :: v_dual_mov_b32 v9, s1
	s_sleep 1
	global_store_b64 v[12:13], v[10:11], off
	global_wb scope:SCOPE_SYS
	s_wait_storecnt 0x0
	global_atomic_cmpswap_b64 v[8:9], v3, v[8:11], s[2:3] offset:24 th:TH_ATOMIC_RETURN scope:SCOPE_SYS
	s_wait_loadcnt 0x0
	v_cmp_eq_u64_e32 vcc_lo, v[8:9], v[10:11]
	v_dual_mov_b32 v11, v9 :: v_dual_mov_b32 v10, v8
	s_wait_alu 0xfffe
	s_or_b32 s10, vcc_lo, s10
	s_wait_alu 0xfffe
	s_and_not1_b32 exec_lo, exec_lo, s10
	s_cbranch_execnz .LBB7_591
	s_branch .LBB7_516
.LBB7_592:
	global_load_b64 v[0:1], v[10:11], off
	s_and_saveexec_b32 s6, s0
	s_cbranch_execz .LBB7_596
; %bb.593:
	v_mov_b32_e32 v8, 0
	s_clause 0x2
	global_load_b64 v[2:3], v8, s[2:3] offset:40
	global_load_b64 v[11:12], v8, s[2:3] offset:24 scope:SCOPE_SYS
	global_load_b64 v[4:5], v8, s[2:3]
	s_wait_loadcnt 0x2
	v_readfirstlane_b32 s8, v2
	v_readfirstlane_b32 s9, v3
	s_add_nc_u64 s[0:1], s[8:9], 1
	s_wait_alu 0xfffe
	s_add_nc_u64 s[4:5], s[0:1], s[4:5]
	s_wait_alu 0xfffe
	s_cmp_eq_u64 s[4:5], 0
	s_cselect_b32 s1, s1, s5
	s_cselect_b32 s0, s0, s4
	s_wait_alu 0xfffe
	v_mov_b32_e32 v10, s1
	s_and_b64 s[4:5], s[0:1], s[8:9]
	v_mov_b32_e32 v9, s0
	s_wait_alu 0xfffe
	s_mul_u64 s[4:5], s[4:5], 24
	s_wait_loadcnt 0x0
	s_wait_alu 0xfffe
	v_add_co_u32 v6, vcc_lo, v4, s4
	s_wait_alu 0xfffd
	v_add_co_ci_u32_e64 v7, null, s5, v5, vcc_lo
	global_store_b64 v[6:7], v[11:12], off
	global_wb scope:SCOPE_SYS
	s_wait_storecnt 0x0
	global_atomic_cmpswap_b64 v[4:5], v8, v[9:12], s[2:3] offset:24 th:TH_ATOMIC_RETURN scope:SCOPE_SYS
	s_wait_loadcnt 0x0
	v_cmp_ne_u64_e32 vcc_lo, v[4:5], v[11:12]
	s_and_b32 exec_lo, exec_lo, vcc_lo
	s_cbranch_execz .LBB7_596
; %bb.594:
	s_mov_b32 s4, 0
.LBB7_595:                              ; =>This Inner Loop Header: Depth=1
	v_dual_mov_b32 v2, s0 :: v_dual_mov_b32 v3, s1
	s_sleep 1
	global_store_b64 v[6:7], v[4:5], off
	global_wb scope:SCOPE_SYS
	s_wait_storecnt 0x0
	global_atomic_cmpswap_b64 v[2:3], v8, v[2:5], s[2:3] offset:24 th:TH_ATOMIC_RETURN scope:SCOPE_SYS
	s_wait_loadcnt 0x0
	v_cmp_eq_u64_e32 vcc_lo, v[2:3], v[4:5]
	v_dual_mov_b32 v5, v3 :: v_dual_mov_b32 v4, v2
	s_wait_alu 0xfffe
	s_or_b32 s4, vcc_lo, s4
	s_wait_alu 0xfffe
	s_and_not1_b32 exec_lo, exec_lo, s4
	s_cbranch_execnz .LBB7_595
.LBB7_596:
	s_wait_alu 0xfffe
	s_or_b32 exec_lo, exec_lo, s6
	s_getpc_b64 s[4:5]
	s_wait_alu 0xfffe
	s_sext_i32_i16 s5, s5
	s_add_co_u32 s4, s4, .str.28@rel32@lo+12
	s_wait_alu 0xfffe
	s_add_co_ci_u32 s5, s5, .str.28@rel32@hi+24
	s_wait_alu 0xfffe
	s_cmp_lg_u64 s[4:5], 0
	s_cbranch_scc0 .LBB7_738
; %bb.597:
	s_wait_loadcnt 0x0
	v_dual_mov_b32 v7, v1 :: v_dual_and_b32 v6, -3, v0
	v_dual_mov_b32 v3, 0 :: v_dual_mov_b32 v4, 2
	v_mov_b32_e32 v5, 1
	s_mov_b64 s[6:7], 35
	s_branch .LBB7_599
.LBB7_598:                              ;   in Loop: Header=BB7_599 Depth=1
	s_wait_alu 0xfffe
	s_or_b32 exec_lo, exec_lo, s12
	s_sub_nc_u64 s[6:7], s[6:7], s[8:9]
	s_add_nc_u64 s[4:5], s[4:5], s[8:9]
	s_wait_alu 0xfffe
	s_cmp_lg_u64 s[6:7], 0
	s_cbranch_scc0 .LBB7_676
.LBB7_599:                              ; =>This Loop Header: Depth=1
                                        ;     Child Loop BB7_602 Depth 2
                                        ;     Child Loop BB7_609 Depth 2
	;; [unrolled: 1-line block ×11, first 2 shown]
	s_wait_alu 0xfffe
	v_cmp_lt_u64_e64 s0, s[6:7], 56
	v_cmp_gt_u64_e64 s1, s[6:7], 7
	s_and_b32 s0, s0, exec_lo
	s_cselect_b32 s9, s7, 0
	s_cselect_b32 s8, s6, 56
	s_and_b32 vcc_lo, exec_lo, s1
	s_wait_alu 0xfffe
	s_cbranch_vccnz .LBB7_604
; %bb.600:                              ;   in Loop: Header=BB7_599 Depth=1
	s_wait_loadcnt 0x0
	v_mov_b32_e32 v8, 0
	v_mov_b32_e32 v9, 0
	s_cmp_eq_u64 s[6:7], 0
	s_cbranch_scc1 .LBB7_603
; %bb.601:                              ;   in Loop: Header=BB7_599 Depth=1
	s_mov_b64 s[0:1], 0
	s_mov_b64 s[10:11], 0
.LBB7_602:                              ;   Parent Loop BB7_599 Depth=1
                                        ; =>  This Inner Loop Header: Depth=2
	s_wait_alu 0xfffe
	s_add_nc_u64 s[12:13], s[4:5], s[10:11]
	s_add_nc_u64 s[10:11], s[10:11], 1
	global_load_u8 v2, v3, s[12:13]
	s_wait_alu 0xfffe
	s_cmp_lg_u32 s8, s10
	s_wait_loadcnt 0x0
	v_and_b32_e32 v2, 0xffff, v2
	s_delay_alu instid0(VALU_DEP_1) | instskip(SKIP_1) | instid1(VALU_DEP_1)
	v_lshlrev_b64_e32 v[10:11], s0, v[2:3]
	s_add_nc_u64 s[0:1], s[0:1], 8
	v_or_b32_e32 v8, v10, v8
	s_delay_alu instid0(VALU_DEP_2)
	v_or_b32_e32 v9, v11, v9
	s_cbranch_scc1 .LBB7_602
.LBB7_603:                              ;   in Loop: Header=BB7_599 Depth=1
	s_mov_b64 s[10:11], s[4:5]
	s_mov_b32 s14, 0
	s_cbranch_execz .LBB7_605
	s_branch .LBB7_606
.LBB7_604:                              ;   in Loop: Header=BB7_599 Depth=1
	s_add_nc_u64 s[10:11], s[4:5], 8
	s_mov_b32 s14, 0
.LBB7_605:                              ;   in Loop: Header=BB7_599 Depth=1
	s_wait_loadcnt 0x0
	global_load_b64 v[8:9], v3, s[4:5]
	s_add_co_i32 s14, s8, -8
.LBB7_606:                              ;   in Loop: Header=BB7_599 Depth=1
	s_wait_alu 0xfffe
	s_cmp_gt_u32 s14, 7
	s_cbranch_scc1 .LBB7_611
; %bb.607:                              ;   in Loop: Header=BB7_599 Depth=1
	v_mov_b32_e32 v10, 0
	v_mov_b32_e32 v11, 0
	s_cmp_eq_u32 s14, 0
	s_cbranch_scc1 .LBB7_610
; %bb.608:                              ;   in Loop: Header=BB7_599 Depth=1
	s_mov_b64 s[0:1], 0
	s_mov_b64 s[12:13], 0
.LBB7_609:                              ;   Parent Loop BB7_599 Depth=1
                                        ; =>  This Inner Loop Header: Depth=2
	s_wait_alu 0xfffe
	s_add_nc_u64 s[28:29], s[10:11], s[12:13]
	s_add_nc_u64 s[12:13], s[12:13], 1
	global_load_u8 v2, v3, s[28:29]
	s_wait_alu 0xfffe
	s_cmp_lg_u32 s14, s12
	s_wait_loadcnt 0x0
	v_and_b32_e32 v2, 0xffff, v2
	s_delay_alu instid0(VALU_DEP_1) | instskip(SKIP_1) | instid1(VALU_DEP_1)
	v_lshlrev_b64_e32 v[12:13], s0, v[2:3]
	s_add_nc_u64 s[0:1], s[0:1], 8
	v_or_b32_e32 v10, v12, v10
	s_delay_alu instid0(VALU_DEP_2)
	v_or_b32_e32 v11, v13, v11
	s_cbranch_scc1 .LBB7_609
.LBB7_610:                              ;   in Loop: Header=BB7_599 Depth=1
	s_mov_b64 s[0:1], s[10:11]
	s_mov_b32 s15, 0
	s_cbranch_execz .LBB7_612
	s_branch .LBB7_613
.LBB7_611:                              ;   in Loop: Header=BB7_599 Depth=1
	s_add_nc_u64 s[0:1], s[10:11], 8
                                        ; implicit-def: $vgpr10_vgpr11
	s_mov_b32 s15, 0
.LBB7_612:                              ;   in Loop: Header=BB7_599 Depth=1
	global_load_b64 v[10:11], v3, s[10:11]
	s_add_co_i32 s15, s14, -8
.LBB7_613:                              ;   in Loop: Header=BB7_599 Depth=1
	s_wait_alu 0xfffe
	s_cmp_gt_u32 s15, 7
	s_cbranch_scc1 .LBB7_618
; %bb.614:                              ;   in Loop: Header=BB7_599 Depth=1
	v_mov_b32_e32 v12, 0
	v_mov_b32_e32 v13, 0
	s_cmp_eq_u32 s15, 0
	s_cbranch_scc1 .LBB7_617
; %bb.615:                              ;   in Loop: Header=BB7_599 Depth=1
	s_mov_b64 s[10:11], 0
	s_mov_b64 s[12:13], 0
.LBB7_616:                              ;   Parent Loop BB7_599 Depth=1
                                        ; =>  This Inner Loop Header: Depth=2
	s_wait_alu 0xfffe
	s_add_nc_u64 s[28:29], s[0:1], s[12:13]
	s_add_nc_u64 s[12:13], s[12:13], 1
	global_load_u8 v2, v3, s[28:29]
	s_wait_alu 0xfffe
	s_cmp_lg_u32 s15, s12
	s_wait_loadcnt 0x0
	v_and_b32_e32 v2, 0xffff, v2
	s_delay_alu instid0(VALU_DEP_1) | instskip(SKIP_1) | instid1(VALU_DEP_1)
	v_lshlrev_b64_e32 v[14:15], s10, v[2:3]
	s_add_nc_u64 s[10:11], s[10:11], 8
	v_or_b32_e32 v12, v14, v12
	s_delay_alu instid0(VALU_DEP_2)
	v_or_b32_e32 v13, v15, v13
	s_cbranch_scc1 .LBB7_616
.LBB7_617:                              ;   in Loop: Header=BB7_599 Depth=1
	s_mov_b64 s[10:11], s[0:1]
	s_mov_b32 s14, 0
	s_cbranch_execz .LBB7_619
	s_branch .LBB7_620
.LBB7_618:                              ;   in Loop: Header=BB7_599 Depth=1
	s_add_nc_u64 s[10:11], s[0:1], 8
	s_mov_b32 s14, 0
.LBB7_619:                              ;   in Loop: Header=BB7_599 Depth=1
	global_load_b64 v[12:13], v3, s[0:1]
	s_add_co_i32 s14, s15, -8
.LBB7_620:                              ;   in Loop: Header=BB7_599 Depth=1
	s_wait_alu 0xfffe
	s_cmp_gt_u32 s14, 7
	s_cbranch_scc1 .LBB7_625
; %bb.621:                              ;   in Loop: Header=BB7_599 Depth=1
	v_mov_b32_e32 v14, 0
	v_mov_b32_e32 v15, 0
	s_cmp_eq_u32 s14, 0
	s_cbranch_scc1 .LBB7_624
; %bb.622:                              ;   in Loop: Header=BB7_599 Depth=1
	s_mov_b64 s[0:1], 0
	s_mov_b64 s[12:13], 0
.LBB7_623:                              ;   Parent Loop BB7_599 Depth=1
                                        ; =>  This Inner Loop Header: Depth=2
	s_wait_alu 0xfffe
	s_add_nc_u64 s[28:29], s[10:11], s[12:13]
	s_add_nc_u64 s[12:13], s[12:13], 1
	global_load_u8 v2, v3, s[28:29]
	s_wait_alu 0xfffe
	s_cmp_lg_u32 s14, s12
	s_wait_loadcnt 0x0
	v_and_b32_e32 v2, 0xffff, v2
	s_delay_alu instid0(VALU_DEP_1) | instskip(SKIP_1) | instid1(VALU_DEP_1)
	v_lshlrev_b64_e32 v[16:17], s0, v[2:3]
	s_add_nc_u64 s[0:1], s[0:1], 8
	v_or_b32_e32 v14, v16, v14
	s_delay_alu instid0(VALU_DEP_2)
	v_or_b32_e32 v15, v17, v15
	s_cbranch_scc1 .LBB7_623
.LBB7_624:                              ;   in Loop: Header=BB7_599 Depth=1
	s_mov_b64 s[0:1], s[10:11]
	s_mov_b32 s15, 0
	s_cbranch_execz .LBB7_626
	s_branch .LBB7_627
.LBB7_625:                              ;   in Loop: Header=BB7_599 Depth=1
	s_add_nc_u64 s[0:1], s[10:11], 8
                                        ; implicit-def: $vgpr14_vgpr15
	s_mov_b32 s15, 0
.LBB7_626:                              ;   in Loop: Header=BB7_599 Depth=1
	global_load_b64 v[14:15], v3, s[10:11]
	s_add_co_i32 s15, s14, -8
.LBB7_627:                              ;   in Loop: Header=BB7_599 Depth=1
	s_wait_alu 0xfffe
	s_cmp_gt_u32 s15, 7
	s_cbranch_scc1 .LBB7_632
; %bb.628:                              ;   in Loop: Header=BB7_599 Depth=1
	v_mov_b32_e32 v16, 0
	v_mov_b32_e32 v17, 0
	s_cmp_eq_u32 s15, 0
	s_cbranch_scc1 .LBB7_631
; %bb.629:                              ;   in Loop: Header=BB7_599 Depth=1
	s_mov_b64 s[10:11], 0
	s_mov_b64 s[12:13], 0
.LBB7_630:                              ;   Parent Loop BB7_599 Depth=1
                                        ; =>  This Inner Loop Header: Depth=2
	s_wait_alu 0xfffe
	s_add_nc_u64 s[28:29], s[0:1], s[12:13]
	s_add_nc_u64 s[12:13], s[12:13], 1
	global_load_u8 v2, v3, s[28:29]
	s_wait_alu 0xfffe
	s_cmp_lg_u32 s15, s12
	s_wait_loadcnt 0x0
	v_and_b32_e32 v2, 0xffff, v2
	s_delay_alu instid0(VALU_DEP_1) | instskip(SKIP_1) | instid1(VALU_DEP_1)
	v_lshlrev_b64_e32 v[18:19], s10, v[2:3]
	s_add_nc_u64 s[10:11], s[10:11], 8
	v_or_b32_e32 v16, v18, v16
	s_delay_alu instid0(VALU_DEP_2)
	v_or_b32_e32 v17, v19, v17
	s_cbranch_scc1 .LBB7_630
.LBB7_631:                              ;   in Loop: Header=BB7_599 Depth=1
	s_mov_b64 s[10:11], s[0:1]
	s_mov_b32 s14, 0
	s_cbranch_execz .LBB7_633
	s_branch .LBB7_634
.LBB7_632:                              ;   in Loop: Header=BB7_599 Depth=1
	s_add_nc_u64 s[10:11], s[0:1], 8
	s_mov_b32 s14, 0
.LBB7_633:                              ;   in Loop: Header=BB7_599 Depth=1
	global_load_b64 v[16:17], v3, s[0:1]
	s_add_co_i32 s14, s15, -8
.LBB7_634:                              ;   in Loop: Header=BB7_599 Depth=1
	s_wait_alu 0xfffe
	s_cmp_gt_u32 s14, 7
	s_cbranch_scc1 .LBB7_639
; %bb.635:                              ;   in Loop: Header=BB7_599 Depth=1
	v_mov_b32_e32 v18, 0
	v_mov_b32_e32 v19, 0
	s_cmp_eq_u32 s14, 0
	s_cbranch_scc1 .LBB7_638
; %bb.636:                              ;   in Loop: Header=BB7_599 Depth=1
	s_mov_b64 s[0:1], 0
	s_mov_b64 s[12:13], 0
.LBB7_637:                              ;   Parent Loop BB7_599 Depth=1
                                        ; =>  This Inner Loop Header: Depth=2
	s_wait_alu 0xfffe
	s_add_nc_u64 s[28:29], s[10:11], s[12:13]
	s_add_nc_u64 s[12:13], s[12:13], 1
	global_load_u8 v2, v3, s[28:29]
	s_wait_alu 0xfffe
	s_cmp_lg_u32 s14, s12
	s_wait_loadcnt 0x0
	v_and_b32_e32 v2, 0xffff, v2
	s_delay_alu instid0(VALU_DEP_1) | instskip(SKIP_1) | instid1(VALU_DEP_1)
	v_lshlrev_b64_e32 v[20:21], s0, v[2:3]
	s_add_nc_u64 s[0:1], s[0:1], 8
	v_or_b32_e32 v18, v20, v18
	s_delay_alu instid0(VALU_DEP_2)
	v_or_b32_e32 v19, v21, v19
	s_cbranch_scc1 .LBB7_637
.LBB7_638:                              ;   in Loop: Header=BB7_599 Depth=1
	s_mov_b64 s[0:1], s[10:11]
	s_mov_b32 s15, 0
	s_cbranch_execz .LBB7_640
	s_branch .LBB7_641
.LBB7_639:                              ;   in Loop: Header=BB7_599 Depth=1
	s_add_nc_u64 s[0:1], s[10:11], 8
                                        ; implicit-def: $vgpr18_vgpr19
	s_mov_b32 s15, 0
.LBB7_640:                              ;   in Loop: Header=BB7_599 Depth=1
	global_load_b64 v[18:19], v3, s[10:11]
	s_add_co_i32 s15, s14, -8
.LBB7_641:                              ;   in Loop: Header=BB7_599 Depth=1
	s_wait_alu 0xfffe
	s_cmp_gt_u32 s15, 7
	s_cbranch_scc1 .LBB7_646
; %bb.642:                              ;   in Loop: Header=BB7_599 Depth=1
	v_mov_b32_e32 v20, 0
	v_mov_b32_e32 v21, 0
	s_cmp_eq_u32 s15, 0
	s_cbranch_scc1 .LBB7_645
; %bb.643:                              ;   in Loop: Header=BB7_599 Depth=1
	s_mov_b64 s[10:11], 0
	s_mov_b64 s[12:13], s[0:1]
.LBB7_644:                              ;   Parent Loop BB7_599 Depth=1
                                        ; =>  This Inner Loop Header: Depth=2
	global_load_u8 v2, v3, s[12:13]
	s_add_co_i32 s15, s15, -1
	s_wait_alu 0xfffe
	s_add_nc_u64 s[12:13], s[12:13], 1
	s_cmp_lg_u32 s15, 0
	s_wait_loadcnt 0x0
	v_and_b32_e32 v2, 0xffff, v2
	s_delay_alu instid0(VALU_DEP_1) | instskip(SKIP_1) | instid1(VALU_DEP_1)
	v_lshlrev_b64_e32 v[22:23], s10, v[2:3]
	s_add_nc_u64 s[10:11], s[10:11], 8
	v_or_b32_e32 v20, v22, v20
	s_delay_alu instid0(VALU_DEP_2)
	v_or_b32_e32 v21, v23, v21
	s_cbranch_scc1 .LBB7_644
.LBB7_645:                              ;   in Loop: Header=BB7_599 Depth=1
	s_cbranch_execz .LBB7_647
	s_branch .LBB7_648
.LBB7_646:                              ;   in Loop: Header=BB7_599 Depth=1
.LBB7_647:                              ;   in Loop: Header=BB7_599 Depth=1
	global_load_b64 v[20:21], v3, s[0:1]
.LBB7_648:                              ;   in Loop: Header=BB7_599 Depth=1
	v_readfirstlane_b32 s0, v31
	v_mov_b32_e32 v26, 0
	v_mov_b32_e32 v27, 0
	s_wait_alu 0xf1ff
	s_delay_alu instid0(VALU_DEP_3)
	v_cmp_eq_u32_e64 s0, s0, v31
	s_and_saveexec_b32 s1, s0
	s_cbranch_execz .LBB7_654
; %bb.649:                              ;   in Loop: Header=BB7_599 Depth=1
	global_load_b64 v[24:25], v3, s[2:3] offset:24 scope:SCOPE_SYS
	s_wait_loadcnt 0x0
	global_inv scope:SCOPE_SYS
	s_clause 0x1
	global_load_b64 v[22:23], v3, s[2:3] offset:40
	global_load_b64 v[26:27], v3, s[2:3]
	s_mov_b32 s10, exec_lo
	s_wait_loadcnt 0x1
	v_and_b32_e32 v2, v23, v25
	v_and_b32_e32 v22, v22, v24
	s_delay_alu instid0(VALU_DEP_2) | instskip(NEXT) | instid1(VALU_DEP_2)
	v_mul_lo_u32 v2, 24, v2
	v_mul_lo_u32 v23, 0, v22
	v_mul_hi_u32 v28, 24, v22
	v_mul_lo_u32 v22, 24, v22
	s_delay_alu instid0(VALU_DEP_3) | instskip(SKIP_1) | instid1(VALU_DEP_2)
	v_add_nc_u32_e32 v2, v2, v23
	s_wait_loadcnt 0x0
	v_add_co_u32 v22, vcc_lo, v26, v22
	s_delay_alu instid0(VALU_DEP_2) | instskip(SKIP_1) | instid1(VALU_DEP_1)
	v_add_nc_u32_e32 v2, v2, v28
	s_wait_alu 0xfffd
	v_add_co_ci_u32_e64 v23, null, v27, v2, vcc_lo
	global_load_b64 v[22:23], v[22:23], off scope:SCOPE_SYS
	s_wait_loadcnt 0x0
	global_atomic_cmpswap_b64 v[26:27], v3, v[22:25], s[2:3] offset:24 th:TH_ATOMIC_RETURN scope:SCOPE_SYS
	s_wait_loadcnt 0x0
	global_inv scope:SCOPE_SYS
	v_cmpx_ne_u64_e64 v[26:27], v[24:25]
	s_cbranch_execz .LBB7_653
; %bb.650:                              ;   in Loop: Header=BB7_599 Depth=1
	s_mov_b32 s11, 0
.LBB7_651:                              ;   Parent Loop BB7_599 Depth=1
                                        ; =>  This Inner Loop Header: Depth=2
	s_sleep 1
	s_clause 0x1
	global_load_b64 v[22:23], v3, s[2:3] offset:40
	global_load_b64 v[28:29], v3, s[2:3]
	v_dual_mov_b32 v24, v26 :: v_dual_mov_b32 v25, v27
	s_wait_loadcnt 0x1
	s_delay_alu instid0(VALU_DEP_1) | instskip(NEXT) | instid1(VALU_DEP_2)
	v_and_b32_e32 v2, v22, v24
	v_and_b32_e32 v22, v23, v25
	s_wait_loadcnt 0x0
	s_delay_alu instid0(VALU_DEP_2) | instskip(NEXT) | instid1(VALU_DEP_1)
	v_mad_co_u64_u32 v[26:27], null, v2, 24, v[28:29]
	v_mov_b32_e32 v2, v27
	s_delay_alu instid0(VALU_DEP_1) | instskip(NEXT) | instid1(VALU_DEP_1)
	v_mad_co_u64_u32 v[22:23], null, v22, 24, v[2:3]
	v_mov_b32_e32 v27, v22
	global_load_b64 v[22:23], v[26:27], off scope:SCOPE_SYS
	s_wait_loadcnt 0x0
	global_atomic_cmpswap_b64 v[26:27], v3, v[22:25], s[2:3] offset:24 th:TH_ATOMIC_RETURN scope:SCOPE_SYS
	s_wait_loadcnt 0x0
	global_inv scope:SCOPE_SYS
	v_cmp_eq_u64_e32 vcc_lo, v[26:27], v[24:25]
	s_wait_alu 0xfffe
	s_or_b32 s11, vcc_lo, s11
	s_wait_alu 0xfffe
	s_and_not1_b32 exec_lo, exec_lo, s11
	s_cbranch_execnz .LBB7_651
; %bb.652:                              ;   in Loop: Header=BB7_599 Depth=1
	s_or_b32 exec_lo, exec_lo, s11
.LBB7_653:                              ;   in Loop: Header=BB7_599 Depth=1
	s_wait_alu 0xfffe
	s_or_b32 exec_lo, exec_lo, s10
.LBB7_654:                              ;   in Loop: Header=BB7_599 Depth=1
	s_wait_alu 0xfffe
	s_or_b32 exec_lo, exec_lo, s1
	s_clause 0x1
	global_load_b64 v[28:29], v3, s[2:3] offset:40
	global_load_b128 v[22:25], v3, s[2:3]
	v_readfirstlane_b32 s11, v27
	v_readfirstlane_b32 s10, v26
	s_mov_b32 s1, exec_lo
	s_wait_loadcnt 0x1
	s_wait_alu 0xf1ff
	v_and_b32_e32 v29, s11, v29
	v_and_b32_e32 v28, s10, v28
	s_delay_alu instid0(VALU_DEP_2) | instskip(NEXT) | instid1(VALU_DEP_2)
	v_mul_lo_u32 v2, 24, v29
	v_mul_lo_u32 v26, 0, v28
	v_mul_hi_u32 v27, 24, v28
	v_mul_lo_u32 v32, 24, v28
	s_delay_alu instid0(VALU_DEP_3) | instskip(SKIP_1) | instid1(VALU_DEP_2)
	v_add_nc_u32_e32 v2, v2, v26
	s_wait_loadcnt 0x0
	v_add_co_u32 v26, vcc_lo, v22, v32
	s_delay_alu instid0(VALU_DEP_2) | instskip(SKIP_1) | instid1(VALU_DEP_1)
	v_add_nc_u32_e32 v2, v2, v27
	s_wait_alu 0xfffd
	v_add_co_ci_u32_e64 v27, null, v23, v2, vcc_lo
	s_and_saveexec_b32 s12, s0
	s_cbranch_execz .LBB7_656
; %bb.655:                              ;   in Loop: Header=BB7_599 Depth=1
	s_wait_alu 0xfffe
	v_mov_b32_e32 v2, s1
	global_store_b128 v[26:27], v[2:5], off offset:8
.LBB7_656:                              ;   in Loop: Header=BB7_599 Depth=1
	s_wait_alu 0xfffe
	s_or_b32 exec_lo, exec_lo, s12
	v_cmp_gt_u64_e64 s1, s[6:7], 56
	v_lshlrev_b64_e32 v[28:29], 12, v[28:29]
	v_and_b32_e32 v2, 0xffffff1f, v6
	s_and_b32 s1, s1, exec_lo
	s_delay_alu instid0(VALU_DEP_2)
	v_add_co_u32 v24, vcc_lo, v24, v28
	s_cselect_b32 s1, 0, 2
	s_wait_alu 0xfffd
	v_add_co_ci_u32_e64 v25, null, v25, v29, vcc_lo
	s_wait_alu 0xfffe
	v_or_b32_e32 v2, s1, v2
	s_lshl_b32 s12, s8, 2
	s_wait_alu 0xfffe
	s_add_co_i32 s1, s12, 28
	v_readfirstlane_b32 s12, v24
	v_readfirstlane_b32 s13, v25
	s_wait_alu 0xfffe
	v_and_or_b32 v6, 0x1e0, s1, v2
	s_clause 0x3
	global_store_b128 v30, v[6:9], s[12:13]
	global_store_b128 v30, v[10:13], s[12:13] offset:16
	global_store_b128 v30, v[14:17], s[12:13] offset:32
	global_store_b128 v30, v[18:21], s[12:13] offset:48
	s_and_saveexec_b32 s1, s0
	s_cbranch_execz .LBB7_664
; %bb.657:                              ;   in Loop: Header=BB7_599 Depth=1
	s_clause 0x1
	global_load_b64 v[14:15], v3, s[2:3] offset:32 scope:SCOPE_SYS
	global_load_b64 v[6:7], v3, s[2:3] offset:40
	v_mov_b32_e32 v12, s10
	s_mov_b32 s12, exec_lo
	s_wait_loadcnt 0x0
	v_dual_mov_b32 v13, s11 :: v_dual_and_b32 v2, s11, v7
	v_and_b32_e32 v6, s10, v6
	s_delay_alu instid0(VALU_DEP_2) | instskip(NEXT) | instid1(VALU_DEP_2)
	v_mul_lo_u32 v2, 24, v2
	v_mul_lo_u32 v7, 0, v6
	v_mul_hi_u32 v8, 24, v6
	v_mul_lo_u32 v6, 24, v6
	s_delay_alu instid0(VALU_DEP_3) | instskip(NEXT) | instid1(VALU_DEP_2)
	v_add_nc_u32_e32 v2, v2, v7
	v_add_co_u32 v10, vcc_lo, v22, v6
	s_delay_alu instid0(VALU_DEP_2) | instskip(SKIP_1) | instid1(VALU_DEP_1)
	v_add_nc_u32_e32 v2, v2, v8
	s_wait_alu 0xfffd
	v_add_co_ci_u32_e64 v11, null, v23, v2, vcc_lo
	global_store_b64 v[10:11], v[14:15], off
	global_wb scope:SCOPE_SYS
	s_wait_storecnt 0x0
	global_atomic_cmpswap_b64 v[8:9], v3, v[12:15], s[2:3] offset:32 th:TH_ATOMIC_RETURN scope:SCOPE_SYS
	s_wait_loadcnt 0x0
	v_cmpx_ne_u64_e64 v[8:9], v[14:15]
	s_cbranch_execz .LBB7_660
; %bb.658:                              ;   in Loop: Header=BB7_599 Depth=1
	s_mov_b32 s13, 0
.LBB7_659:                              ;   Parent Loop BB7_599 Depth=1
                                        ; =>  This Inner Loop Header: Depth=2
	v_dual_mov_b32 v6, s10 :: v_dual_mov_b32 v7, s11
	s_sleep 1
	global_store_b64 v[10:11], v[8:9], off
	global_wb scope:SCOPE_SYS
	s_wait_storecnt 0x0
	global_atomic_cmpswap_b64 v[6:7], v3, v[6:9], s[2:3] offset:32 th:TH_ATOMIC_RETURN scope:SCOPE_SYS
	s_wait_loadcnt 0x0
	v_cmp_eq_u64_e32 vcc_lo, v[6:7], v[8:9]
	v_dual_mov_b32 v9, v7 :: v_dual_mov_b32 v8, v6
	s_wait_alu 0xfffe
	s_or_b32 s13, vcc_lo, s13
	s_wait_alu 0xfffe
	s_and_not1_b32 exec_lo, exec_lo, s13
	s_cbranch_execnz .LBB7_659
.LBB7_660:                              ;   in Loop: Header=BB7_599 Depth=1
	s_wait_alu 0xfffe
	s_or_b32 exec_lo, exec_lo, s12
	global_load_b64 v[6:7], v3, s[2:3] offset:16
	s_mov_b32 s13, exec_lo
	s_mov_b32 s12, exec_lo
	s_wait_alu 0xfffe
	v_mbcnt_lo_u32_b32 v2, s13, 0
	s_delay_alu instid0(VALU_DEP_1)
	v_cmpx_eq_u32_e32 0, v2
	s_cbranch_execz .LBB7_662
; %bb.661:                              ;   in Loop: Header=BB7_599 Depth=1
	s_bcnt1_i32_b32 s13, s13
	s_wait_alu 0xfffe
	v_mov_b32_e32 v2, s13
	global_wb scope:SCOPE_SYS
	s_wait_loadcnt 0x0
	s_wait_storecnt 0x0
	global_atomic_add_u64 v[6:7], v[2:3], off offset:8 scope:SCOPE_SYS
.LBB7_662:                              ;   in Loop: Header=BB7_599 Depth=1
	s_or_b32 exec_lo, exec_lo, s12
	s_wait_loadcnt 0x0
	global_load_b64 v[8:9], v[6:7], off offset:16
	s_wait_loadcnt 0x0
	v_cmp_eq_u64_e32 vcc_lo, 0, v[8:9]
	s_cbranch_vccnz .LBB7_664
; %bb.663:                              ;   in Loop: Header=BB7_599 Depth=1
	global_load_b32 v2, v[6:7], off offset:24
	s_wait_loadcnt 0x0
	v_readfirstlane_b32 s12, v2
	global_wb scope:SCOPE_SYS
	s_wait_storecnt 0x0
	global_store_b64 v[8:9], v[2:3], off scope:SCOPE_SYS
	s_and_b32 m0, s12, 0xffffff
	s_sendmsg sendmsg(MSG_INTERRUPT)
.LBB7_664:                              ;   in Loop: Header=BB7_599 Depth=1
	s_wait_alu 0xfffe
	s_or_b32 exec_lo, exec_lo, s1
	v_add_co_u32 v6, vcc_lo, v24, v30
	s_wait_alu 0xfffd
	v_add_co_ci_u32_e64 v7, null, 0, v25, vcc_lo
	s_branch .LBB7_668
.LBB7_665:                              ;   in Loop: Header=BB7_668 Depth=2
	s_wait_alu 0xfffe
	s_or_b32 exec_lo, exec_lo, s1
	s_delay_alu instid0(VALU_DEP_1)
	v_readfirstlane_b32 s1, v2
	s_cmp_eq_u32 s1, 0
	s_cbranch_scc1 .LBB7_667
; %bb.666:                              ;   in Loop: Header=BB7_668 Depth=2
	s_sleep 1
	s_cbranch_execnz .LBB7_668
	s_branch .LBB7_670
.LBB7_667:                              ;   in Loop: Header=BB7_599 Depth=1
	s_branch .LBB7_670
.LBB7_668:                              ;   Parent Loop BB7_599 Depth=1
                                        ; =>  This Inner Loop Header: Depth=2
	v_mov_b32_e32 v2, 1
	s_and_saveexec_b32 s1, s0
	s_cbranch_execz .LBB7_665
; %bb.669:                              ;   in Loop: Header=BB7_668 Depth=2
	global_load_b32 v2, v[26:27], off offset:20 scope:SCOPE_SYS
	s_wait_loadcnt 0x0
	global_inv scope:SCOPE_SYS
	v_and_b32_e32 v2, 1, v2
	s_branch .LBB7_665
.LBB7_670:                              ;   in Loop: Header=BB7_599 Depth=1
	global_load_b128 v[6:9], v[6:7], off
	s_and_saveexec_b32 s12, s0
	s_cbranch_execz .LBB7_598
; %bb.671:                              ;   in Loop: Header=BB7_599 Depth=1
	s_wait_loadcnt 0x0
	s_clause 0x2
	global_load_b64 v[8:9], v3, s[2:3] offset:40
	global_load_b64 v[16:17], v3, s[2:3] offset:24 scope:SCOPE_SYS
	global_load_b64 v[10:11], v3, s[2:3]
	s_wait_loadcnt 0x2
	v_readfirstlane_b32 s14, v8
	v_readfirstlane_b32 s15, v9
	s_add_nc_u64 s[0:1], s[14:15], 1
	s_wait_alu 0xfffe
	s_add_nc_u64 s[10:11], s[0:1], s[10:11]
	s_wait_alu 0xfffe
	s_cmp_eq_u64 s[10:11], 0
	s_cselect_b32 s1, s1, s11
	s_cselect_b32 s0, s0, s10
	s_wait_alu 0xfffe
	v_dual_mov_b32 v15, s1 :: v_dual_mov_b32 v14, s0
	s_and_b64 s[10:11], s[0:1], s[14:15]
	s_wait_alu 0xfffe
	s_mul_u64 s[10:11], s[10:11], 24
	s_wait_loadcnt 0x0
	s_wait_alu 0xfffe
	v_add_co_u32 v12, vcc_lo, v10, s10
	s_wait_alu 0xfffd
	v_add_co_ci_u32_e64 v13, null, s11, v11, vcc_lo
	global_store_b64 v[12:13], v[16:17], off
	global_wb scope:SCOPE_SYS
	s_wait_storecnt 0x0
	global_atomic_cmpswap_b64 v[10:11], v3, v[14:17], s[2:3] offset:24 th:TH_ATOMIC_RETURN scope:SCOPE_SYS
	s_wait_loadcnt 0x0
	v_cmp_ne_u64_e32 vcc_lo, v[10:11], v[16:17]
	s_and_b32 exec_lo, exec_lo, vcc_lo
	s_cbranch_execz .LBB7_598
; %bb.672:                              ;   in Loop: Header=BB7_599 Depth=1
	s_mov_b32 s10, 0
.LBB7_673:                              ;   Parent Loop BB7_599 Depth=1
                                        ; =>  This Inner Loop Header: Depth=2
	v_dual_mov_b32 v8, s0 :: v_dual_mov_b32 v9, s1
	s_sleep 1
	global_store_b64 v[12:13], v[10:11], off
	global_wb scope:SCOPE_SYS
	s_wait_storecnt 0x0
	global_atomic_cmpswap_b64 v[8:9], v3, v[8:11], s[2:3] offset:24 th:TH_ATOMIC_RETURN scope:SCOPE_SYS
	s_wait_loadcnt 0x0
	v_cmp_eq_u64_e32 vcc_lo, v[8:9], v[10:11]
	v_dual_mov_b32 v11, v9 :: v_dual_mov_b32 v10, v8
	s_wait_alu 0xfffe
	s_or_b32 s10, vcc_lo, s10
	s_wait_alu 0xfffe
	s_and_not1_b32 exec_lo, exec_lo, s10
	s_cbranch_execnz .LBB7_673
	s_branch .LBB7_598
.LBB7_674:
	s_branch .LBB7_705
.LBB7_675:
	s_branch .LBB7_736
.LBB7_676:
	s_branch .LBB7_766
.LBB7_677:
	s_cbranch_execz .LBB7_705
; %bb.678:
	v_readfirstlane_b32 s0, v31
	s_wait_loadcnt 0x0
	v_mov_b32_e32 v8, 0
	v_mov_b32_e32 v9, 0
	s_wait_alu 0xf1ff
	v_cmp_eq_u32_e64 s0, s0, v31
	s_and_saveexec_b32 s1, s0
	s_cbranch_execz .LBB7_684
; %bb.679:
	v_mov_b32_e32 v2, 0
	s_mov_b32 s4, exec_lo
	global_load_b64 v[5:6], v2, s[2:3] offset:24 scope:SCOPE_SYS
	s_wait_loadcnt 0x0
	global_inv scope:SCOPE_SYS
	s_clause 0x1
	global_load_b64 v[3:4], v2, s[2:3] offset:40
	global_load_b64 v[7:8], v2, s[2:3]
	s_wait_loadcnt 0x1
	v_and_b32_e32 v4, v4, v6
	v_and_b32_e32 v3, v3, v5
	s_delay_alu instid0(VALU_DEP_2) | instskip(NEXT) | instid1(VALU_DEP_2)
	v_mul_lo_u32 v4, 24, v4
	v_mul_lo_u32 v9, 0, v3
	v_mul_hi_u32 v10, 24, v3
	v_mul_lo_u32 v3, 24, v3
	s_delay_alu instid0(VALU_DEP_3) | instskip(SKIP_1) | instid1(VALU_DEP_2)
	v_add_nc_u32_e32 v4, v4, v9
	s_wait_loadcnt 0x0
	v_add_co_u32 v3, vcc_lo, v7, v3
	s_delay_alu instid0(VALU_DEP_2) | instskip(SKIP_1) | instid1(VALU_DEP_1)
	v_add_nc_u32_e32 v4, v4, v10
	s_wait_alu 0xfffd
	v_add_co_ci_u32_e64 v4, null, v8, v4, vcc_lo
	global_load_b64 v[3:4], v[3:4], off scope:SCOPE_SYS
	s_wait_loadcnt 0x0
	global_atomic_cmpswap_b64 v[8:9], v2, v[3:6], s[2:3] offset:24 th:TH_ATOMIC_RETURN scope:SCOPE_SYS
	s_wait_loadcnt 0x0
	global_inv scope:SCOPE_SYS
	v_cmpx_ne_u64_e64 v[8:9], v[5:6]
	s_cbranch_execz .LBB7_683
; %bb.680:
	s_mov_b32 s5, 0
.LBB7_681:                              ; =>This Inner Loop Header: Depth=1
	s_sleep 1
	s_clause 0x1
	global_load_b64 v[3:4], v2, s[2:3] offset:40
	global_load_b64 v[10:11], v2, s[2:3]
	v_dual_mov_b32 v5, v8 :: v_dual_mov_b32 v6, v9
	s_wait_loadcnt 0x1
	s_delay_alu instid0(VALU_DEP_1) | instskip(NEXT) | instid1(VALU_DEP_2)
	v_and_b32_e32 v3, v3, v5
	v_and_b32_e32 v4, v4, v6
	s_wait_loadcnt 0x0
	s_delay_alu instid0(VALU_DEP_2) | instskip(NEXT) | instid1(VALU_DEP_1)
	v_mad_co_u64_u32 v[7:8], null, v3, 24, v[10:11]
	v_mov_b32_e32 v3, v8
	s_delay_alu instid0(VALU_DEP_1) | instskip(NEXT) | instid1(VALU_DEP_1)
	v_mad_co_u64_u32 v[3:4], null, v4, 24, v[3:4]
	v_mov_b32_e32 v8, v3
	global_load_b64 v[3:4], v[7:8], off scope:SCOPE_SYS
	s_wait_loadcnt 0x0
	global_atomic_cmpswap_b64 v[8:9], v2, v[3:6], s[2:3] offset:24 th:TH_ATOMIC_RETURN scope:SCOPE_SYS
	s_wait_loadcnt 0x0
	global_inv scope:SCOPE_SYS
	v_cmp_eq_u64_e32 vcc_lo, v[8:9], v[5:6]
	s_wait_alu 0xfffe
	s_or_b32 s5, vcc_lo, s5
	s_wait_alu 0xfffe
	s_and_not1_b32 exec_lo, exec_lo, s5
	s_cbranch_execnz .LBB7_681
; %bb.682:
	s_or_b32 exec_lo, exec_lo, s5
.LBB7_683:
	s_wait_alu 0xfffe
	s_or_b32 exec_lo, exec_lo, s4
.LBB7_684:
	s_wait_alu 0xfffe
	s_or_b32 exec_lo, exec_lo, s1
	v_readfirstlane_b32 s5, v9
	v_mov_b32_e32 v2, 0
	v_readfirstlane_b32 s4, v8
	s_mov_b32 s1, exec_lo
	s_clause 0x1
	global_load_b64 v[10:11], v2, s[2:3] offset:40
	global_load_b128 v[4:7], v2, s[2:3]
	s_wait_loadcnt 0x1
	s_wait_alu 0xf1ff
	v_and_b32_e32 v11, s5, v11
	v_and_b32_e32 v10, s4, v10
	s_delay_alu instid0(VALU_DEP_2) | instskip(NEXT) | instid1(VALU_DEP_2)
	v_mul_lo_u32 v3, 24, v11
	v_mul_lo_u32 v8, 0, v10
	v_mul_hi_u32 v9, 24, v10
	v_mul_lo_u32 v12, 24, v10
	s_delay_alu instid0(VALU_DEP_3) | instskip(SKIP_1) | instid1(VALU_DEP_2)
	v_add_nc_u32_e32 v3, v3, v8
	s_wait_loadcnt 0x0
	v_add_co_u32 v8, vcc_lo, v4, v12
	s_delay_alu instid0(VALU_DEP_2) | instskip(SKIP_1) | instid1(VALU_DEP_1)
	v_add_nc_u32_e32 v3, v3, v9
	s_wait_alu 0xfffd
	v_add_co_ci_u32_e64 v9, null, v5, v3, vcc_lo
	s_and_saveexec_b32 s6, s0
	s_cbranch_execz .LBB7_686
; %bb.685:
	s_wait_alu 0xfffe
	v_dual_mov_b32 v12, s1 :: v_dual_mov_b32 v13, v2
	v_dual_mov_b32 v14, 2 :: v_dual_mov_b32 v15, 1
	global_store_b128 v[8:9], v[12:15], off offset:8
.LBB7_686:
	s_wait_alu 0xfffe
	s_or_b32 exec_lo, exec_lo, s6
	v_lshlrev_b64_e32 v[10:11], 12, v[10:11]
	s_mov_b32 s8, 0
	v_and_or_b32 v0, 0xffffff1d, v0, 34
	s_wait_alu 0xfffe
	s_mov_b32 s11, s8
	s_mov_b32 s9, s8
	;; [unrolled: 1-line block ×3, first 2 shown]
	v_add_co_u32 v6, vcc_lo, v6, v10
	s_wait_alu 0xfffd
	v_add_co_ci_u32_e64 v7, null, v7, v11, vcc_lo
	v_mov_b32_e32 v3, v2
	s_delay_alu instid0(VALU_DEP_3)
	v_readfirstlane_b32 s6, v6
	s_wait_alu 0xfffe
	v_dual_mov_b32 v13, s11 :: v_dual_mov_b32 v10, s8
	v_readfirstlane_b32 s7, v7
	v_dual_mov_b32 v12, s10 :: v_dual_mov_b32 v11, s9
	s_clause 0x3
	global_store_b128 v30, v[0:3], s[6:7]
	global_store_b128 v30, v[10:13], s[6:7] offset:16
	global_store_b128 v30, v[10:13], s[6:7] offset:32
	;; [unrolled: 1-line block ×3, first 2 shown]
	s_and_saveexec_b32 s1, s0
	s_cbranch_execz .LBB7_694
; %bb.687:
	v_mov_b32_e32 v6, 0
	s_mov_b32 s6, exec_lo
	s_clause 0x1
	global_load_b64 v[12:13], v6, s[2:3] offset:32 scope:SCOPE_SYS
	global_load_b64 v[0:1], v6, s[2:3] offset:40
	v_dual_mov_b32 v11, s5 :: v_dual_mov_b32 v10, s4
	s_wait_loadcnt 0x0
	v_and_b32_e32 v1, s5, v1
	v_and_b32_e32 v0, s4, v0
	s_delay_alu instid0(VALU_DEP_2) | instskip(NEXT) | instid1(VALU_DEP_2)
	v_mul_lo_u32 v1, 24, v1
	v_mul_lo_u32 v2, 0, v0
	v_mul_hi_u32 v3, 24, v0
	v_mul_lo_u32 v0, 24, v0
	s_delay_alu instid0(VALU_DEP_3) | instskip(NEXT) | instid1(VALU_DEP_2)
	v_add_nc_u32_e32 v1, v1, v2
	v_add_co_u32 v4, vcc_lo, v4, v0
	s_delay_alu instid0(VALU_DEP_2) | instskip(SKIP_1) | instid1(VALU_DEP_1)
	v_add_nc_u32_e32 v1, v1, v3
	s_wait_alu 0xfffd
	v_add_co_ci_u32_e64 v5, null, v5, v1, vcc_lo
	global_store_b64 v[4:5], v[12:13], off
	global_wb scope:SCOPE_SYS
	s_wait_storecnt 0x0
	global_atomic_cmpswap_b64 v[2:3], v6, v[10:13], s[2:3] offset:32 th:TH_ATOMIC_RETURN scope:SCOPE_SYS
	s_wait_loadcnt 0x0
	v_cmpx_ne_u64_e64 v[2:3], v[12:13]
	s_cbranch_execz .LBB7_690
; %bb.688:
	s_mov_b32 s7, 0
.LBB7_689:                              ; =>This Inner Loop Header: Depth=1
	v_dual_mov_b32 v0, s4 :: v_dual_mov_b32 v1, s5
	s_sleep 1
	global_store_b64 v[4:5], v[2:3], off
	global_wb scope:SCOPE_SYS
	s_wait_storecnt 0x0
	global_atomic_cmpswap_b64 v[0:1], v6, v[0:3], s[2:3] offset:32 th:TH_ATOMIC_RETURN scope:SCOPE_SYS
	s_wait_loadcnt 0x0
	v_cmp_eq_u64_e32 vcc_lo, v[0:1], v[2:3]
	v_dual_mov_b32 v3, v1 :: v_dual_mov_b32 v2, v0
	s_wait_alu 0xfffe
	s_or_b32 s7, vcc_lo, s7
	s_wait_alu 0xfffe
	s_and_not1_b32 exec_lo, exec_lo, s7
	s_cbranch_execnz .LBB7_689
.LBB7_690:
	s_wait_alu 0xfffe
	s_or_b32 exec_lo, exec_lo, s6
	v_mov_b32_e32 v3, 0
	s_mov_b32 s7, exec_lo
	s_mov_b32 s6, exec_lo
	s_wait_alu 0xfffe
	v_mbcnt_lo_u32_b32 v2, s7, 0
	global_load_b64 v[0:1], v3, s[2:3] offset:16
	v_cmpx_eq_u32_e32 0, v2
	s_cbranch_execz .LBB7_692
; %bb.691:
	s_bcnt1_i32_b32 s7, s7
	s_wait_alu 0xfffe
	v_mov_b32_e32 v2, s7
	global_wb scope:SCOPE_SYS
	s_wait_loadcnt 0x0
	s_wait_storecnt 0x0
	global_atomic_add_u64 v[0:1], v[2:3], off offset:8 scope:SCOPE_SYS
.LBB7_692:
	s_or_b32 exec_lo, exec_lo, s6
	s_wait_loadcnt 0x0
	global_load_b64 v[2:3], v[0:1], off offset:16
	s_wait_loadcnt 0x0
	v_cmp_eq_u64_e32 vcc_lo, 0, v[2:3]
	s_cbranch_vccnz .LBB7_694
; %bb.693:
	global_load_b32 v0, v[0:1], off offset:24
	v_mov_b32_e32 v1, 0
	s_wait_loadcnt 0x0
	v_readfirstlane_b32 s6, v0
	global_wb scope:SCOPE_SYS
	s_wait_storecnt 0x0
	global_store_b64 v[2:3], v[0:1], off scope:SCOPE_SYS
	s_and_b32 m0, s6, 0xffffff
	s_sendmsg sendmsg(MSG_INTERRUPT)
.LBB7_694:
	s_wait_alu 0xfffe
	s_or_b32 exec_lo, exec_lo, s1
	s_branch .LBB7_698
.LBB7_695:                              ;   in Loop: Header=BB7_698 Depth=1
	s_wait_alu 0xfffe
	s_or_b32 exec_lo, exec_lo, s1
	s_delay_alu instid0(VALU_DEP_1)
	v_readfirstlane_b32 s1, v0
	s_cmp_eq_u32 s1, 0
	s_cbranch_scc1 .LBB7_697
; %bb.696:                              ;   in Loop: Header=BB7_698 Depth=1
	s_sleep 1
	s_cbranch_execnz .LBB7_698
	s_branch .LBB7_700
.LBB7_697:
	s_branch .LBB7_700
.LBB7_698:                              ; =>This Inner Loop Header: Depth=1
	v_mov_b32_e32 v0, 1
	s_and_saveexec_b32 s1, s0
	s_cbranch_execz .LBB7_695
; %bb.699:                              ;   in Loop: Header=BB7_698 Depth=1
	global_load_b32 v0, v[8:9], off offset:20 scope:SCOPE_SYS
	s_wait_loadcnt 0x0
	global_inv scope:SCOPE_SYS
	v_and_b32_e32 v0, 1, v0
	s_branch .LBB7_695
.LBB7_700:
	s_and_saveexec_b32 s6, s0
	s_cbranch_execz .LBB7_704
; %bb.701:
	v_mov_b32_e32 v6, 0
	s_clause 0x2
	global_load_b64 v[0:1], v6, s[2:3] offset:40
	global_load_b64 v[9:10], v6, s[2:3] offset:24 scope:SCOPE_SYS
	global_load_b64 v[2:3], v6, s[2:3]
	s_wait_loadcnt 0x2
	v_readfirstlane_b32 s8, v0
	v_readfirstlane_b32 s9, v1
	s_add_nc_u64 s[0:1], s[8:9], 1
	s_wait_alu 0xfffe
	s_add_nc_u64 s[4:5], s[0:1], s[4:5]
	s_wait_alu 0xfffe
	s_cmp_eq_u64 s[4:5], 0
	s_cselect_b32 s1, s1, s5
	s_cselect_b32 s0, s0, s4
	s_wait_alu 0xfffe
	v_mov_b32_e32 v8, s1
	s_and_b64 s[4:5], s[0:1], s[8:9]
	v_mov_b32_e32 v7, s0
	s_wait_alu 0xfffe
	s_mul_u64 s[4:5], s[4:5], 24
	s_wait_loadcnt 0x0
	s_wait_alu 0xfffe
	v_add_co_u32 v4, vcc_lo, v2, s4
	s_wait_alu 0xfffd
	v_add_co_ci_u32_e64 v5, null, s5, v3, vcc_lo
	global_store_b64 v[4:5], v[9:10], off
	global_wb scope:SCOPE_SYS
	s_wait_storecnt 0x0
	global_atomic_cmpswap_b64 v[2:3], v6, v[7:10], s[2:3] offset:24 th:TH_ATOMIC_RETURN scope:SCOPE_SYS
	s_wait_loadcnt 0x0
	v_cmp_ne_u64_e32 vcc_lo, v[2:3], v[9:10]
	s_and_b32 exec_lo, exec_lo, vcc_lo
	s_cbranch_execz .LBB7_704
; %bb.702:
	s_mov_b32 s4, 0
.LBB7_703:                              ; =>This Inner Loop Header: Depth=1
	v_dual_mov_b32 v0, s0 :: v_dual_mov_b32 v1, s1
	s_sleep 1
	global_store_b64 v[4:5], v[2:3], off
	global_wb scope:SCOPE_SYS
	s_wait_storecnt 0x0
	global_atomic_cmpswap_b64 v[0:1], v6, v[0:3], s[2:3] offset:24 th:TH_ATOMIC_RETURN scope:SCOPE_SYS
	s_wait_loadcnt 0x0
	v_cmp_eq_u64_e32 vcc_lo, v[0:1], v[2:3]
	v_dual_mov_b32 v3, v1 :: v_dual_mov_b32 v2, v0
	s_wait_alu 0xfffe
	s_or_b32 s4, vcc_lo, s4
	s_wait_alu 0xfffe
	s_and_not1_b32 exec_lo, exec_lo, s4
	s_cbranch_execnz .LBB7_703
.LBB7_704:
	s_wait_alu 0xfffe
	s_or_b32 exec_lo, exec_lo, s6
.LBB7_705:
	s_getpc_b64 s[0:1]
	s_wait_alu 0xfffe
	s_sext_i32_i16 s1, s1
	s_add_co_u32 s0, s0, .str.29@rel32@lo+12
	s_wait_alu 0xfffe
	s_add_co_ci_u32 s1, s1, .str.29@rel32@hi+24
	s_getpc_b64 s[2:3]
	s_wait_alu 0xfffe
	s_sext_i32_i16 s3, s3
	s_add_co_u32 s2, s2, .str.19@rel32@lo+12
	s_wait_alu 0xfffe
	s_add_co_ci_u32 s3, s3, .str.19@rel32@hi+24
	s_getpc_b64 s[4:5]
	s_wait_alu 0xfffe
	s_sext_i32_i16 s5, s5
	s_add_co_u32 s4, s4, __PRETTY_FUNCTION__._ZN7VecsMemIjLi8192EE5fetchEi@rel32@lo+12
	s_wait_alu 0xfffe
	s_add_co_ci_u32 s5, s5, __PRETTY_FUNCTION__._ZN7VecsMemIjLi8192EE5fetchEi@rel32@hi+24
	s_wait_loadcnt 0x0
	v_dual_mov_b32 v0, s0 :: v_dual_mov_b32 v1, s1
	v_dual_mov_b32 v2, s2 :: v_dual_mov_b32 v3, s3
	;; [unrolled: 1-line block ×3, first 2 shown]
	s_wait_alu 0xfffe
	v_mov_b32_e32 v6, s5
	s_getpc_b64 s[6:7]
	s_wait_alu 0xfffe
	s_sext_i32_i16 s7, s7
	s_add_co_u32 s6, s6, __assert_fail@rel32@lo+12
	s_wait_alu 0xfffe
	s_add_co_ci_u32 s7, s7, __assert_fail@rel32@hi+24
	s_mov_b64 s[8:9], s[84:85]
	s_wait_alu 0xfffe
	s_swappc_b64 s[30:31], s[6:7]
	s_or_b32 s17, s17, exec_lo
	s_or_b32 exec_lo, exec_lo, s39
	s_and_saveexec_b32 s0, s38
	s_wait_alu 0xfffe
	s_xor_b32 s38, exec_lo, s0
	s_cbranch_execz .LBB7_330
.LBB7_706:
	s_getpc_b64 s[0:1]
	s_wait_alu 0xfffe
	s_sext_i32_i16 s1, s1
	s_add_co_u32 s0, s0, .str.18@rel32@lo+12
	s_wait_alu 0xfffe
	s_add_co_ci_u32 s1, s1, .str.18@rel32@hi+24
	s_getpc_b64 s[2:3]
	s_wait_alu 0xfffe
	s_sext_i32_i16 s3, s3
	s_add_co_u32 s2, s2, .str.19@rel32@lo+12
	s_wait_alu 0xfffe
	s_add_co_ci_u32 s3, s3, .str.19@rel32@hi+24
	s_getpc_b64 s[4:5]
	s_wait_alu 0xfffe
	s_sext_i32_i16 s5, s5
	s_add_co_u32 s4, s4, __PRETTY_FUNCTION__._ZN7VecsMemIjLi8192EE6shrinkEi@rel32@lo+12
	s_wait_alu 0xfffe
	s_add_co_ci_u32 s5, s5, __PRETTY_FUNCTION__._ZN7VecsMemIjLi8192EE6shrinkEi@rel32@hi+24
	v_dual_mov_b32 v0, s0 :: v_dual_mov_b32 v1, s1
	v_dual_mov_b32 v2, s2 :: v_dual_mov_b32 v3, s3
	;; [unrolled: 1-line block ×3, first 2 shown]
	s_wait_loadcnt 0x0
	s_wait_alu 0xfffe
	v_mov_b32_e32 v6, s5
	s_getpc_b64 s[6:7]
	s_wait_alu 0xfffe
	s_sext_i32_i16 s7, s7
	s_add_co_u32 s6, s6, __assert_fail@rel32@lo+12
	s_wait_alu 0xfffe
	s_add_co_ci_u32 s7, s7, __assert_fail@rel32@hi+24
	s_mov_b64 s[8:9], s[84:85]
	s_wait_alu 0xfffe
	s_swappc_b64 s[30:31], s[6:7]
	s_or_b32 s17, s17, exec_lo
	s_or_b32 exec_lo, exec_lo, s38
	s_and_saveexec_b32 s0, s37
	s_wait_alu 0xfffe
	s_xor_b32 s37, exec_lo, s0
	s_cbranch_execz .LBB7_331
.LBB7_707:
	s_getpc_b64 s[0:1]
	s_wait_alu 0xfffe
	s_sext_i32_i16 s1, s1
	s_add_co_u32 s0, s0, .str.18@rel32@lo+12
	s_wait_alu 0xfffe
	s_add_co_ci_u32 s1, s1, .str.18@rel32@hi+24
	s_getpc_b64 s[2:3]
	s_wait_alu 0xfffe
	s_sext_i32_i16 s3, s3
	s_add_co_u32 s2, s2, .str.19@rel32@lo+12
	s_wait_alu 0xfffe
	s_add_co_ci_u32 s3, s3, .str.19@rel32@hi+24
	s_getpc_b64 s[4:5]
	s_wait_alu 0xfffe
	s_sext_i32_i16 s5, s5
	s_add_co_u32 s4, s4, __PRETTY_FUNCTION__._ZN7VecsMemIjLi8192EE6shrinkEi@rel32@lo+12
	s_wait_alu 0xfffe
	s_add_co_ci_u32 s5, s5, __PRETTY_FUNCTION__._ZN7VecsMemIjLi8192EE6shrinkEi@rel32@hi+24
	v_dual_mov_b32 v0, s0 :: v_dual_mov_b32 v1, s1
	v_dual_mov_b32 v2, s2 :: v_dual_mov_b32 v3, s3
	;; [unrolled: 1-line block ×3, first 2 shown]
	s_wait_loadcnt 0x0
	s_wait_alu 0xfffe
	v_mov_b32_e32 v6, s5
	s_getpc_b64 s[6:7]
	s_wait_alu 0xfffe
	s_sext_i32_i16 s7, s7
	s_add_co_u32 s6, s6, __assert_fail@rel32@lo+12
	s_wait_alu 0xfffe
	s_add_co_ci_u32 s7, s7, __assert_fail@rel32@hi+24
	s_mov_b64 s[8:9], s[84:85]
	s_wait_alu 0xfffe
	s_swappc_b64 s[30:31], s[6:7]
	s_or_b32 s17, s17, exec_lo
	s_or_b32 exec_lo, exec_lo, s37
	s_and_saveexec_b32 s0, s36
	s_wait_alu 0xfffe
	s_xor_b32 s36, exec_lo, s0
	s_cbranch_execnz .LBB7_332
	s_branch .LBB7_333
.LBB7_708:
	s_cbranch_execz .LBB7_736
; %bb.709:
	v_readfirstlane_b32 s0, v31
	s_wait_loadcnt 0x0
	v_mov_b32_e32 v8, 0
	v_mov_b32_e32 v9, 0
	s_wait_alu 0xf1ff
	v_cmp_eq_u32_e64 s0, s0, v31
	s_and_saveexec_b32 s1, s0
	s_cbranch_execz .LBB7_715
; %bb.710:
	v_mov_b32_e32 v2, 0
	s_mov_b32 s4, exec_lo
	global_load_b64 v[5:6], v2, s[2:3] offset:24 scope:SCOPE_SYS
	s_wait_loadcnt 0x0
	global_inv scope:SCOPE_SYS
	s_clause 0x1
	global_load_b64 v[3:4], v2, s[2:3] offset:40
	global_load_b64 v[7:8], v2, s[2:3]
	s_wait_loadcnt 0x1
	v_and_b32_e32 v4, v4, v6
	v_and_b32_e32 v3, v3, v5
	s_delay_alu instid0(VALU_DEP_2) | instskip(NEXT) | instid1(VALU_DEP_2)
	v_mul_lo_u32 v4, 24, v4
	v_mul_lo_u32 v9, 0, v3
	v_mul_hi_u32 v10, 24, v3
	v_mul_lo_u32 v3, 24, v3
	s_delay_alu instid0(VALU_DEP_3) | instskip(SKIP_1) | instid1(VALU_DEP_2)
	v_add_nc_u32_e32 v4, v4, v9
	s_wait_loadcnt 0x0
	v_add_co_u32 v3, vcc_lo, v7, v3
	s_delay_alu instid0(VALU_DEP_2) | instskip(SKIP_1) | instid1(VALU_DEP_1)
	v_add_nc_u32_e32 v4, v4, v10
	s_wait_alu 0xfffd
	v_add_co_ci_u32_e64 v4, null, v8, v4, vcc_lo
	global_load_b64 v[3:4], v[3:4], off scope:SCOPE_SYS
	s_wait_loadcnt 0x0
	global_atomic_cmpswap_b64 v[8:9], v2, v[3:6], s[2:3] offset:24 th:TH_ATOMIC_RETURN scope:SCOPE_SYS
	s_wait_loadcnt 0x0
	global_inv scope:SCOPE_SYS
	v_cmpx_ne_u64_e64 v[8:9], v[5:6]
	s_cbranch_execz .LBB7_714
; %bb.711:
	s_mov_b32 s5, 0
.LBB7_712:                              ; =>This Inner Loop Header: Depth=1
	s_sleep 1
	s_clause 0x1
	global_load_b64 v[3:4], v2, s[2:3] offset:40
	global_load_b64 v[10:11], v2, s[2:3]
	v_dual_mov_b32 v5, v8 :: v_dual_mov_b32 v6, v9
	s_wait_loadcnt 0x1
	s_delay_alu instid0(VALU_DEP_1) | instskip(NEXT) | instid1(VALU_DEP_2)
	v_and_b32_e32 v3, v3, v5
	v_and_b32_e32 v4, v4, v6
	s_wait_loadcnt 0x0
	s_delay_alu instid0(VALU_DEP_2) | instskip(NEXT) | instid1(VALU_DEP_1)
	v_mad_co_u64_u32 v[7:8], null, v3, 24, v[10:11]
	v_mov_b32_e32 v3, v8
	s_delay_alu instid0(VALU_DEP_1) | instskip(NEXT) | instid1(VALU_DEP_1)
	v_mad_co_u64_u32 v[3:4], null, v4, 24, v[3:4]
	v_mov_b32_e32 v8, v3
	global_load_b64 v[3:4], v[7:8], off scope:SCOPE_SYS
	s_wait_loadcnt 0x0
	global_atomic_cmpswap_b64 v[8:9], v2, v[3:6], s[2:3] offset:24 th:TH_ATOMIC_RETURN scope:SCOPE_SYS
	s_wait_loadcnt 0x0
	global_inv scope:SCOPE_SYS
	v_cmp_eq_u64_e32 vcc_lo, v[8:9], v[5:6]
	s_wait_alu 0xfffe
	s_or_b32 s5, vcc_lo, s5
	s_wait_alu 0xfffe
	s_and_not1_b32 exec_lo, exec_lo, s5
	s_cbranch_execnz .LBB7_712
; %bb.713:
	s_or_b32 exec_lo, exec_lo, s5
.LBB7_714:
	s_wait_alu 0xfffe
	s_or_b32 exec_lo, exec_lo, s4
.LBB7_715:
	s_wait_alu 0xfffe
	s_or_b32 exec_lo, exec_lo, s1
	v_readfirstlane_b32 s5, v9
	v_mov_b32_e32 v2, 0
	v_readfirstlane_b32 s4, v8
	s_mov_b32 s1, exec_lo
	s_clause 0x1
	global_load_b64 v[10:11], v2, s[2:3] offset:40
	global_load_b128 v[4:7], v2, s[2:3]
	s_wait_loadcnt 0x1
	s_wait_alu 0xf1ff
	v_and_b32_e32 v11, s5, v11
	v_and_b32_e32 v10, s4, v10
	s_delay_alu instid0(VALU_DEP_2) | instskip(NEXT) | instid1(VALU_DEP_2)
	v_mul_lo_u32 v3, 24, v11
	v_mul_lo_u32 v8, 0, v10
	v_mul_hi_u32 v9, 24, v10
	v_mul_lo_u32 v12, 24, v10
	s_delay_alu instid0(VALU_DEP_3) | instskip(SKIP_1) | instid1(VALU_DEP_2)
	v_add_nc_u32_e32 v3, v3, v8
	s_wait_loadcnt 0x0
	v_add_co_u32 v8, vcc_lo, v4, v12
	s_delay_alu instid0(VALU_DEP_2) | instskip(SKIP_1) | instid1(VALU_DEP_1)
	v_add_nc_u32_e32 v3, v3, v9
	s_wait_alu 0xfffd
	v_add_co_ci_u32_e64 v9, null, v5, v3, vcc_lo
	s_and_saveexec_b32 s6, s0
	s_cbranch_execz .LBB7_717
; %bb.716:
	s_wait_alu 0xfffe
	v_dual_mov_b32 v12, s1 :: v_dual_mov_b32 v13, v2
	v_dual_mov_b32 v14, 2 :: v_dual_mov_b32 v15, 1
	global_store_b128 v[8:9], v[12:15], off offset:8
.LBB7_717:
	s_wait_alu 0xfffe
	s_or_b32 exec_lo, exec_lo, s6
	v_lshlrev_b64_e32 v[10:11], 12, v[10:11]
	s_mov_b32 s8, 0
	v_and_or_b32 v0, 0xffffff1d, v0, 34
	s_wait_alu 0xfffe
	s_mov_b32 s11, s8
	s_mov_b32 s9, s8
	;; [unrolled: 1-line block ×3, first 2 shown]
	v_add_co_u32 v6, vcc_lo, v6, v10
	s_wait_alu 0xfffd
	v_add_co_ci_u32_e64 v7, null, v7, v11, vcc_lo
	v_mov_b32_e32 v3, v2
	s_delay_alu instid0(VALU_DEP_3)
	v_readfirstlane_b32 s6, v6
	s_wait_alu 0xfffe
	v_dual_mov_b32 v13, s11 :: v_dual_mov_b32 v10, s8
	v_readfirstlane_b32 s7, v7
	v_dual_mov_b32 v12, s10 :: v_dual_mov_b32 v11, s9
	s_clause 0x3
	global_store_b128 v30, v[0:3], s[6:7]
	global_store_b128 v30, v[10:13], s[6:7] offset:16
	global_store_b128 v30, v[10:13], s[6:7] offset:32
	;; [unrolled: 1-line block ×3, first 2 shown]
	s_and_saveexec_b32 s1, s0
	s_cbranch_execz .LBB7_725
; %bb.718:
	v_mov_b32_e32 v6, 0
	s_mov_b32 s6, exec_lo
	s_clause 0x1
	global_load_b64 v[12:13], v6, s[2:3] offset:32 scope:SCOPE_SYS
	global_load_b64 v[0:1], v6, s[2:3] offset:40
	v_dual_mov_b32 v11, s5 :: v_dual_mov_b32 v10, s4
	s_wait_loadcnt 0x0
	v_and_b32_e32 v1, s5, v1
	v_and_b32_e32 v0, s4, v0
	s_delay_alu instid0(VALU_DEP_2) | instskip(NEXT) | instid1(VALU_DEP_2)
	v_mul_lo_u32 v1, 24, v1
	v_mul_lo_u32 v2, 0, v0
	v_mul_hi_u32 v3, 24, v0
	v_mul_lo_u32 v0, 24, v0
	s_delay_alu instid0(VALU_DEP_3) | instskip(NEXT) | instid1(VALU_DEP_2)
	v_add_nc_u32_e32 v1, v1, v2
	v_add_co_u32 v4, vcc_lo, v4, v0
	s_delay_alu instid0(VALU_DEP_2) | instskip(SKIP_1) | instid1(VALU_DEP_1)
	v_add_nc_u32_e32 v1, v1, v3
	s_wait_alu 0xfffd
	v_add_co_ci_u32_e64 v5, null, v5, v1, vcc_lo
	global_store_b64 v[4:5], v[12:13], off
	global_wb scope:SCOPE_SYS
	s_wait_storecnt 0x0
	global_atomic_cmpswap_b64 v[2:3], v6, v[10:13], s[2:3] offset:32 th:TH_ATOMIC_RETURN scope:SCOPE_SYS
	s_wait_loadcnt 0x0
	v_cmpx_ne_u64_e64 v[2:3], v[12:13]
	s_cbranch_execz .LBB7_721
; %bb.719:
	s_mov_b32 s7, 0
.LBB7_720:                              ; =>This Inner Loop Header: Depth=1
	v_dual_mov_b32 v0, s4 :: v_dual_mov_b32 v1, s5
	s_sleep 1
	global_store_b64 v[4:5], v[2:3], off
	global_wb scope:SCOPE_SYS
	s_wait_storecnt 0x0
	global_atomic_cmpswap_b64 v[0:1], v6, v[0:3], s[2:3] offset:32 th:TH_ATOMIC_RETURN scope:SCOPE_SYS
	s_wait_loadcnt 0x0
	v_cmp_eq_u64_e32 vcc_lo, v[0:1], v[2:3]
	v_dual_mov_b32 v3, v1 :: v_dual_mov_b32 v2, v0
	s_wait_alu 0xfffe
	s_or_b32 s7, vcc_lo, s7
	s_wait_alu 0xfffe
	s_and_not1_b32 exec_lo, exec_lo, s7
	s_cbranch_execnz .LBB7_720
.LBB7_721:
	s_wait_alu 0xfffe
	s_or_b32 exec_lo, exec_lo, s6
	v_mov_b32_e32 v3, 0
	s_mov_b32 s7, exec_lo
	s_mov_b32 s6, exec_lo
	s_wait_alu 0xfffe
	v_mbcnt_lo_u32_b32 v2, s7, 0
	global_load_b64 v[0:1], v3, s[2:3] offset:16
	v_cmpx_eq_u32_e32 0, v2
	s_cbranch_execz .LBB7_723
; %bb.722:
	s_bcnt1_i32_b32 s7, s7
	s_wait_alu 0xfffe
	v_mov_b32_e32 v2, s7
	global_wb scope:SCOPE_SYS
	s_wait_loadcnt 0x0
	s_wait_storecnt 0x0
	global_atomic_add_u64 v[0:1], v[2:3], off offset:8 scope:SCOPE_SYS
.LBB7_723:
	s_or_b32 exec_lo, exec_lo, s6
	s_wait_loadcnt 0x0
	global_load_b64 v[2:3], v[0:1], off offset:16
	s_wait_loadcnt 0x0
	v_cmp_eq_u64_e32 vcc_lo, 0, v[2:3]
	s_cbranch_vccnz .LBB7_725
; %bb.724:
	global_load_b32 v0, v[0:1], off offset:24
	v_mov_b32_e32 v1, 0
	s_wait_loadcnt 0x0
	v_readfirstlane_b32 s6, v0
	global_wb scope:SCOPE_SYS
	s_wait_storecnt 0x0
	global_store_b64 v[2:3], v[0:1], off scope:SCOPE_SYS
	s_and_b32 m0, s6, 0xffffff
	s_sendmsg sendmsg(MSG_INTERRUPT)
.LBB7_725:
	s_wait_alu 0xfffe
	s_or_b32 exec_lo, exec_lo, s1
	s_branch .LBB7_729
.LBB7_726:                              ;   in Loop: Header=BB7_729 Depth=1
	s_wait_alu 0xfffe
	s_or_b32 exec_lo, exec_lo, s1
	s_delay_alu instid0(VALU_DEP_1)
	v_readfirstlane_b32 s1, v0
	s_cmp_eq_u32 s1, 0
	s_cbranch_scc1 .LBB7_728
; %bb.727:                              ;   in Loop: Header=BB7_729 Depth=1
	s_sleep 1
	s_cbranch_execnz .LBB7_729
	s_branch .LBB7_731
.LBB7_728:
	s_branch .LBB7_731
.LBB7_729:                              ; =>This Inner Loop Header: Depth=1
	v_mov_b32_e32 v0, 1
	s_and_saveexec_b32 s1, s0
	s_cbranch_execz .LBB7_726
; %bb.730:                              ;   in Loop: Header=BB7_729 Depth=1
	global_load_b32 v0, v[8:9], off offset:20 scope:SCOPE_SYS
	s_wait_loadcnt 0x0
	global_inv scope:SCOPE_SYS
	v_and_b32_e32 v0, 1, v0
	s_branch .LBB7_726
.LBB7_731:
	s_and_saveexec_b32 s6, s0
	s_cbranch_execz .LBB7_735
; %bb.732:
	v_mov_b32_e32 v6, 0
	s_clause 0x2
	global_load_b64 v[0:1], v6, s[2:3] offset:40
	global_load_b64 v[9:10], v6, s[2:3] offset:24 scope:SCOPE_SYS
	global_load_b64 v[2:3], v6, s[2:3]
	s_wait_loadcnt 0x2
	v_readfirstlane_b32 s8, v0
	v_readfirstlane_b32 s9, v1
	s_add_nc_u64 s[0:1], s[8:9], 1
	s_wait_alu 0xfffe
	s_add_nc_u64 s[4:5], s[0:1], s[4:5]
	s_wait_alu 0xfffe
	s_cmp_eq_u64 s[4:5], 0
	s_cselect_b32 s1, s1, s5
	s_cselect_b32 s0, s0, s4
	s_wait_alu 0xfffe
	v_mov_b32_e32 v8, s1
	s_and_b64 s[4:5], s[0:1], s[8:9]
	v_mov_b32_e32 v7, s0
	s_wait_alu 0xfffe
	s_mul_u64 s[4:5], s[4:5], 24
	s_wait_loadcnt 0x0
	s_wait_alu 0xfffe
	v_add_co_u32 v4, vcc_lo, v2, s4
	s_wait_alu 0xfffd
	v_add_co_ci_u32_e64 v5, null, s5, v3, vcc_lo
	global_store_b64 v[4:5], v[9:10], off
	global_wb scope:SCOPE_SYS
	s_wait_storecnt 0x0
	global_atomic_cmpswap_b64 v[2:3], v6, v[7:10], s[2:3] offset:24 th:TH_ATOMIC_RETURN scope:SCOPE_SYS
	s_wait_loadcnt 0x0
	v_cmp_ne_u64_e32 vcc_lo, v[2:3], v[9:10]
	s_and_b32 exec_lo, exec_lo, vcc_lo
	s_cbranch_execz .LBB7_735
; %bb.733:
	s_mov_b32 s4, 0
.LBB7_734:                              ; =>This Inner Loop Header: Depth=1
	v_dual_mov_b32 v0, s0 :: v_dual_mov_b32 v1, s1
	s_sleep 1
	global_store_b64 v[4:5], v[2:3], off
	global_wb scope:SCOPE_SYS
	s_wait_storecnt 0x0
	global_atomic_cmpswap_b64 v[0:1], v6, v[0:3], s[2:3] offset:24 th:TH_ATOMIC_RETURN scope:SCOPE_SYS
	s_wait_loadcnt 0x0
	v_cmp_eq_u64_e32 vcc_lo, v[0:1], v[2:3]
	v_dual_mov_b32 v3, v1 :: v_dual_mov_b32 v2, v0
	s_wait_alu 0xfffe
	s_or_b32 s4, vcc_lo, s4
	s_wait_alu 0xfffe
	s_and_not1_b32 exec_lo, exec_lo, s4
	s_cbranch_execnz .LBB7_734
.LBB7_735:
	s_wait_alu 0xfffe
	s_or_b32 exec_lo, exec_lo, s6
.LBB7_736:
	s_getpc_b64 s[0:1]
	s_wait_alu 0xfffe
	s_sext_i32_i16 s1, s1
	s_add_co_u32 s0, s0, .str.29@rel32@lo+12
	s_wait_alu 0xfffe
	s_add_co_ci_u32 s1, s1, .str.29@rel32@hi+24
	s_getpc_b64 s[2:3]
	s_wait_alu 0xfffe
	s_sext_i32_i16 s3, s3
	s_add_co_u32 s2, s2, .str.19@rel32@lo+12
	s_wait_alu 0xfffe
	s_add_co_ci_u32 s3, s3, .str.19@rel32@hi+24
	s_getpc_b64 s[4:5]
	s_wait_alu 0xfffe
	s_sext_i32_i16 s5, s5
	s_add_co_u32 s4, s4, __PRETTY_FUNCTION__._ZN7VecsMemIjLi8192EE5fetchEi@rel32@lo+12
	s_wait_alu 0xfffe
	s_add_co_ci_u32 s5, s5, __PRETTY_FUNCTION__._ZN7VecsMemIjLi8192EE5fetchEi@rel32@hi+24
	s_wait_loadcnt 0x0
	v_dual_mov_b32 v0, s0 :: v_dual_mov_b32 v1, s1
	v_dual_mov_b32 v2, s2 :: v_dual_mov_b32 v3, s3
	;; [unrolled: 1-line block ×3, first 2 shown]
	s_wait_alu 0xfffe
	v_mov_b32_e32 v6, s5
	s_getpc_b64 s[6:7]
	s_wait_alu 0xfffe
	s_sext_i32_i16 s7, s7
	s_add_co_u32 s6, s6, __assert_fail@rel32@lo+12
	s_wait_alu 0xfffe
	s_add_co_ci_u32 s7, s7, __assert_fail@rel32@hi+24
	s_mov_b64 s[8:9], s[84:85]
	s_wait_alu 0xfffe
	s_swappc_b64 s[30:31], s[6:7]
	s_or_b32 s17, s17, exec_lo
	s_or_b32 exec_lo, exec_lo, s36
	s_and_saveexec_b32 s0, s34
	s_wait_alu 0xfffe
	s_xor_b32 s34, exec_lo, s0
	s_cbranch_execz .LBB7_335
.LBB7_737:
	s_getpc_b64 s[0:1]
	s_wait_alu 0xfffe
	s_sext_i32_i16 s1, s1
	s_add_co_u32 s0, s0, .str.18@rel32@lo+12
	s_wait_alu 0xfffe
	s_add_co_ci_u32 s1, s1, .str.18@rel32@hi+24
	s_getpc_b64 s[2:3]
	s_wait_alu 0xfffe
	s_sext_i32_i16 s3, s3
	s_add_co_u32 s2, s2, .str.19@rel32@lo+12
	s_wait_alu 0xfffe
	s_add_co_ci_u32 s3, s3, .str.19@rel32@hi+24
	s_getpc_b64 s[4:5]
	s_wait_alu 0xfffe
	s_sext_i32_i16 s5, s5
	s_add_co_u32 s4, s4, __PRETTY_FUNCTION__._ZN7VecsMemIjLi8192EE6shrinkEi@rel32@lo+12
	s_wait_alu 0xfffe
	s_add_co_ci_u32 s5, s5, __PRETTY_FUNCTION__._ZN7VecsMemIjLi8192EE6shrinkEi@rel32@hi+24
	v_dual_mov_b32 v0, s0 :: v_dual_mov_b32 v1, s1
	v_dual_mov_b32 v2, s2 :: v_dual_mov_b32 v3, s3
	;; [unrolled: 1-line block ×3, first 2 shown]
	s_wait_loadcnt 0x0
	s_wait_alu 0xfffe
	v_mov_b32_e32 v6, s5
	s_getpc_b64 s[6:7]
	s_wait_alu 0xfffe
	s_sext_i32_i16 s7, s7
	s_add_co_u32 s6, s6, __assert_fail@rel32@lo+12
	s_wait_alu 0xfffe
	s_add_co_ci_u32 s7, s7, __assert_fail@rel32@hi+24
	s_mov_b64 s[8:9], s[84:85]
	s_wait_alu 0xfffe
	s_swappc_b64 s[30:31], s[6:7]
	s_or_b32 s17, s17, exec_lo
	s_or_b32 exec_lo, exec_lo, s34
	s_and_saveexec_b32 s0, s29
	s_wait_alu 0xfffe
	s_xor_b32 s29, exec_lo, s0
	s_cbranch_execnz .LBB7_336
	s_branch .LBB7_337
.LBB7_738:
	s_cbranch_execz .LBB7_766
; %bb.739:
	v_readfirstlane_b32 s0, v31
	s_wait_loadcnt 0x0
	v_mov_b32_e32 v8, 0
	v_mov_b32_e32 v9, 0
	s_wait_alu 0xf1ff
	v_cmp_eq_u32_e64 s0, s0, v31
	s_and_saveexec_b32 s1, s0
	s_cbranch_execz .LBB7_745
; %bb.740:
	v_mov_b32_e32 v2, 0
	s_mov_b32 s4, exec_lo
	global_load_b64 v[5:6], v2, s[2:3] offset:24 scope:SCOPE_SYS
	s_wait_loadcnt 0x0
	global_inv scope:SCOPE_SYS
	s_clause 0x1
	global_load_b64 v[3:4], v2, s[2:3] offset:40
	global_load_b64 v[7:8], v2, s[2:3]
	s_wait_loadcnt 0x1
	v_and_b32_e32 v4, v4, v6
	v_and_b32_e32 v3, v3, v5
	s_delay_alu instid0(VALU_DEP_2) | instskip(NEXT) | instid1(VALU_DEP_2)
	v_mul_lo_u32 v4, 24, v4
	v_mul_lo_u32 v9, 0, v3
	v_mul_hi_u32 v10, 24, v3
	v_mul_lo_u32 v3, 24, v3
	s_delay_alu instid0(VALU_DEP_3) | instskip(SKIP_1) | instid1(VALU_DEP_2)
	v_add_nc_u32_e32 v4, v4, v9
	s_wait_loadcnt 0x0
	v_add_co_u32 v3, vcc_lo, v7, v3
	s_delay_alu instid0(VALU_DEP_2) | instskip(SKIP_1) | instid1(VALU_DEP_1)
	v_add_nc_u32_e32 v4, v4, v10
	s_wait_alu 0xfffd
	v_add_co_ci_u32_e64 v4, null, v8, v4, vcc_lo
	global_load_b64 v[3:4], v[3:4], off scope:SCOPE_SYS
	s_wait_loadcnt 0x0
	global_atomic_cmpswap_b64 v[8:9], v2, v[3:6], s[2:3] offset:24 th:TH_ATOMIC_RETURN scope:SCOPE_SYS
	s_wait_loadcnt 0x0
	global_inv scope:SCOPE_SYS
	v_cmpx_ne_u64_e64 v[8:9], v[5:6]
	s_cbranch_execz .LBB7_744
; %bb.741:
	s_mov_b32 s5, 0
.LBB7_742:                              ; =>This Inner Loop Header: Depth=1
	s_sleep 1
	s_clause 0x1
	global_load_b64 v[3:4], v2, s[2:3] offset:40
	global_load_b64 v[10:11], v2, s[2:3]
	v_dual_mov_b32 v5, v8 :: v_dual_mov_b32 v6, v9
	s_wait_loadcnt 0x1
	s_delay_alu instid0(VALU_DEP_1) | instskip(NEXT) | instid1(VALU_DEP_2)
	v_and_b32_e32 v3, v3, v5
	v_and_b32_e32 v4, v4, v6
	s_wait_loadcnt 0x0
	s_delay_alu instid0(VALU_DEP_2) | instskip(NEXT) | instid1(VALU_DEP_1)
	v_mad_co_u64_u32 v[7:8], null, v3, 24, v[10:11]
	v_mov_b32_e32 v3, v8
	s_delay_alu instid0(VALU_DEP_1) | instskip(NEXT) | instid1(VALU_DEP_1)
	v_mad_co_u64_u32 v[3:4], null, v4, 24, v[3:4]
	v_mov_b32_e32 v8, v3
	global_load_b64 v[3:4], v[7:8], off scope:SCOPE_SYS
	s_wait_loadcnt 0x0
	global_atomic_cmpswap_b64 v[8:9], v2, v[3:6], s[2:3] offset:24 th:TH_ATOMIC_RETURN scope:SCOPE_SYS
	s_wait_loadcnt 0x0
	global_inv scope:SCOPE_SYS
	v_cmp_eq_u64_e32 vcc_lo, v[8:9], v[5:6]
	s_wait_alu 0xfffe
	s_or_b32 s5, vcc_lo, s5
	s_wait_alu 0xfffe
	s_and_not1_b32 exec_lo, exec_lo, s5
	s_cbranch_execnz .LBB7_742
; %bb.743:
	s_or_b32 exec_lo, exec_lo, s5
.LBB7_744:
	s_wait_alu 0xfffe
	s_or_b32 exec_lo, exec_lo, s4
.LBB7_745:
	s_wait_alu 0xfffe
	s_or_b32 exec_lo, exec_lo, s1
	v_readfirstlane_b32 s5, v9
	v_mov_b32_e32 v2, 0
	v_readfirstlane_b32 s4, v8
	s_mov_b32 s1, exec_lo
	s_clause 0x1
	global_load_b64 v[10:11], v2, s[2:3] offset:40
	global_load_b128 v[4:7], v2, s[2:3]
	s_wait_loadcnt 0x1
	s_wait_alu 0xf1ff
	v_and_b32_e32 v11, s5, v11
	v_and_b32_e32 v10, s4, v10
	s_delay_alu instid0(VALU_DEP_2) | instskip(NEXT) | instid1(VALU_DEP_2)
	v_mul_lo_u32 v3, 24, v11
	v_mul_lo_u32 v8, 0, v10
	v_mul_hi_u32 v9, 24, v10
	v_mul_lo_u32 v12, 24, v10
	s_delay_alu instid0(VALU_DEP_3) | instskip(SKIP_1) | instid1(VALU_DEP_2)
	v_add_nc_u32_e32 v3, v3, v8
	s_wait_loadcnt 0x0
	v_add_co_u32 v8, vcc_lo, v4, v12
	s_delay_alu instid0(VALU_DEP_2) | instskip(SKIP_1) | instid1(VALU_DEP_1)
	v_add_nc_u32_e32 v3, v3, v9
	s_wait_alu 0xfffd
	v_add_co_ci_u32_e64 v9, null, v5, v3, vcc_lo
	s_and_saveexec_b32 s6, s0
	s_cbranch_execz .LBB7_747
; %bb.746:
	s_wait_alu 0xfffe
	v_dual_mov_b32 v12, s1 :: v_dual_mov_b32 v13, v2
	v_dual_mov_b32 v14, 2 :: v_dual_mov_b32 v15, 1
	global_store_b128 v[8:9], v[12:15], off offset:8
.LBB7_747:
	s_wait_alu 0xfffe
	s_or_b32 exec_lo, exec_lo, s6
	v_lshlrev_b64_e32 v[10:11], 12, v[10:11]
	s_mov_b32 s8, 0
	v_and_or_b32 v0, 0xffffff1d, v0, 34
	s_wait_alu 0xfffe
	s_mov_b32 s11, s8
	s_mov_b32 s9, s8
	;; [unrolled: 1-line block ×3, first 2 shown]
	v_add_co_u32 v6, vcc_lo, v6, v10
	s_wait_alu 0xfffd
	v_add_co_ci_u32_e64 v7, null, v7, v11, vcc_lo
	v_mov_b32_e32 v3, v2
	s_delay_alu instid0(VALU_DEP_3)
	v_readfirstlane_b32 s6, v6
	s_wait_alu 0xfffe
	v_dual_mov_b32 v13, s11 :: v_dual_mov_b32 v10, s8
	v_readfirstlane_b32 s7, v7
	v_dual_mov_b32 v12, s10 :: v_dual_mov_b32 v11, s9
	s_clause 0x3
	global_store_b128 v30, v[0:3], s[6:7]
	global_store_b128 v30, v[10:13], s[6:7] offset:16
	global_store_b128 v30, v[10:13], s[6:7] offset:32
	;; [unrolled: 1-line block ×3, first 2 shown]
	s_and_saveexec_b32 s1, s0
	s_cbranch_execz .LBB7_755
; %bb.748:
	v_mov_b32_e32 v6, 0
	s_mov_b32 s6, exec_lo
	s_clause 0x1
	global_load_b64 v[12:13], v6, s[2:3] offset:32 scope:SCOPE_SYS
	global_load_b64 v[0:1], v6, s[2:3] offset:40
	v_dual_mov_b32 v11, s5 :: v_dual_mov_b32 v10, s4
	s_wait_loadcnt 0x0
	v_and_b32_e32 v1, s5, v1
	v_and_b32_e32 v0, s4, v0
	s_delay_alu instid0(VALU_DEP_2) | instskip(NEXT) | instid1(VALU_DEP_2)
	v_mul_lo_u32 v1, 24, v1
	v_mul_lo_u32 v2, 0, v0
	v_mul_hi_u32 v3, 24, v0
	v_mul_lo_u32 v0, 24, v0
	s_delay_alu instid0(VALU_DEP_3) | instskip(NEXT) | instid1(VALU_DEP_2)
	v_add_nc_u32_e32 v1, v1, v2
	v_add_co_u32 v4, vcc_lo, v4, v0
	s_delay_alu instid0(VALU_DEP_2) | instskip(SKIP_1) | instid1(VALU_DEP_1)
	v_add_nc_u32_e32 v1, v1, v3
	s_wait_alu 0xfffd
	v_add_co_ci_u32_e64 v5, null, v5, v1, vcc_lo
	global_store_b64 v[4:5], v[12:13], off
	global_wb scope:SCOPE_SYS
	s_wait_storecnt 0x0
	global_atomic_cmpswap_b64 v[2:3], v6, v[10:13], s[2:3] offset:32 th:TH_ATOMIC_RETURN scope:SCOPE_SYS
	s_wait_loadcnt 0x0
	v_cmpx_ne_u64_e64 v[2:3], v[12:13]
	s_cbranch_execz .LBB7_751
; %bb.749:
	s_mov_b32 s7, 0
.LBB7_750:                              ; =>This Inner Loop Header: Depth=1
	v_dual_mov_b32 v0, s4 :: v_dual_mov_b32 v1, s5
	s_sleep 1
	global_store_b64 v[4:5], v[2:3], off
	global_wb scope:SCOPE_SYS
	s_wait_storecnt 0x0
	global_atomic_cmpswap_b64 v[0:1], v6, v[0:3], s[2:3] offset:32 th:TH_ATOMIC_RETURN scope:SCOPE_SYS
	s_wait_loadcnt 0x0
	v_cmp_eq_u64_e32 vcc_lo, v[0:1], v[2:3]
	v_dual_mov_b32 v3, v1 :: v_dual_mov_b32 v2, v0
	s_wait_alu 0xfffe
	s_or_b32 s7, vcc_lo, s7
	s_wait_alu 0xfffe
	s_and_not1_b32 exec_lo, exec_lo, s7
	s_cbranch_execnz .LBB7_750
.LBB7_751:
	s_wait_alu 0xfffe
	s_or_b32 exec_lo, exec_lo, s6
	v_mov_b32_e32 v3, 0
	s_mov_b32 s7, exec_lo
	s_mov_b32 s6, exec_lo
	s_wait_alu 0xfffe
	v_mbcnt_lo_u32_b32 v2, s7, 0
	global_load_b64 v[0:1], v3, s[2:3] offset:16
	v_cmpx_eq_u32_e32 0, v2
	s_cbranch_execz .LBB7_753
; %bb.752:
	s_bcnt1_i32_b32 s7, s7
	s_wait_alu 0xfffe
	v_mov_b32_e32 v2, s7
	global_wb scope:SCOPE_SYS
	s_wait_loadcnt 0x0
	s_wait_storecnt 0x0
	global_atomic_add_u64 v[0:1], v[2:3], off offset:8 scope:SCOPE_SYS
.LBB7_753:
	s_or_b32 exec_lo, exec_lo, s6
	s_wait_loadcnt 0x0
	global_load_b64 v[2:3], v[0:1], off offset:16
	s_wait_loadcnt 0x0
	v_cmp_eq_u64_e32 vcc_lo, 0, v[2:3]
	s_cbranch_vccnz .LBB7_755
; %bb.754:
	global_load_b32 v0, v[0:1], off offset:24
	v_mov_b32_e32 v1, 0
	s_wait_loadcnt 0x0
	v_readfirstlane_b32 s6, v0
	global_wb scope:SCOPE_SYS
	s_wait_storecnt 0x0
	global_store_b64 v[2:3], v[0:1], off scope:SCOPE_SYS
	s_and_b32 m0, s6, 0xffffff
	s_sendmsg sendmsg(MSG_INTERRUPT)
.LBB7_755:
	s_wait_alu 0xfffe
	s_or_b32 exec_lo, exec_lo, s1
	s_branch .LBB7_759
.LBB7_756:                              ;   in Loop: Header=BB7_759 Depth=1
	s_wait_alu 0xfffe
	s_or_b32 exec_lo, exec_lo, s1
	s_delay_alu instid0(VALU_DEP_1)
	v_readfirstlane_b32 s1, v0
	s_cmp_eq_u32 s1, 0
	s_cbranch_scc1 .LBB7_758
; %bb.757:                              ;   in Loop: Header=BB7_759 Depth=1
	s_sleep 1
	s_cbranch_execnz .LBB7_759
	s_branch .LBB7_761
.LBB7_758:
	s_branch .LBB7_761
.LBB7_759:                              ; =>This Inner Loop Header: Depth=1
	v_mov_b32_e32 v0, 1
	s_and_saveexec_b32 s1, s0
	s_cbranch_execz .LBB7_756
; %bb.760:                              ;   in Loop: Header=BB7_759 Depth=1
	global_load_b32 v0, v[8:9], off offset:20 scope:SCOPE_SYS
	s_wait_loadcnt 0x0
	global_inv scope:SCOPE_SYS
	v_and_b32_e32 v0, 1, v0
	s_branch .LBB7_756
.LBB7_761:
	s_and_saveexec_b32 s6, s0
	s_cbranch_execz .LBB7_765
; %bb.762:
	v_mov_b32_e32 v6, 0
	s_clause 0x2
	global_load_b64 v[0:1], v6, s[2:3] offset:40
	global_load_b64 v[9:10], v6, s[2:3] offset:24 scope:SCOPE_SYS
	global_load_b64 v[2:3], v6, s[2:3]
	s_wait_loadcnt 0x2
	v_readfirstlane_b32 s8, v0
	v_readfirstlane_b32 s9, v1
	s_add_nc_u64 s[0:1], s[8:9], 1
	s_wait_alu 0xfffe
	s_add_nc_u64 s[4:5], s[0:1], s[4:5]
	s_wait_alu 0xfffe
	s_cmp_eq_u64 s[4:5], 0
	s_cselect_b32 s1, s1, s5
	s_cselect_b32 s0, s0, s4
	s_wait_alu 0xfffe
	v_mov_b32_e32 v8, s1
	s_and_b64 s[4:5], s[0:1], s[8:9]
	v_mov_b32_e32 v7, s0
	s_wait_alu 0xfffe
	s_mul_u64 s[4:5], s[4:5], 24
	s_wait_loadcnt 0x0
	s_wait_alu 0xfffe
	v_add_co_u32 v4, vcc_lo, v2, s4
	s_wait_alu 0xfffd
	v_add_co_ci_u32_e64 v5, null, s5, v3, vcc_lo
	global_store_b64 v[4:5], v[9:10], off
	global_wb scope:SCOPE_SYS
	s_wait_storecnt 0x0
	global_atomic_cmpswap_b64 v[2:3], v6, v[7:10], s[2:3] offset:24 th:TH_ATOMIC_RETURN scope:SCOPE_SYS
	s_wait_loadcnt 0x0
	v_cmp_ne_u64_e32 vcc_lo, v[2:3], v[9:10]
	s_and_b32 exec_lo, exec_lo, vcc_lo
	s_cbranch_execz .LBB7_765
; %bb.763:
	s_mov_b32 s4, 0
.LBB7_764:                              ; =>This Inner Loop Header: Depth=1
	v_dual_mov_b32 v0, s0 :: v_dual_mov_b32 v1, s1
	s_sleep 1
	global_store_b64 v[4:5], v[2:3], off
	global_wb scope:SCOPE_SYS
	s_wait_storecnt 0x0
	global_atomic_cmpswap_b64 v[0:1], v6, v[0:3], s[2:3] offset:24 th:TH_ATOMIC_RETURN scope:SCOPE_SYS
	s_wait_loadcnt 0x0
	v_cmp_eq_u64_e32 vcc_lo, v[0:1], v[2:3]
	v_dual_mov_b32 v3, v1 :: v_dual_mov_b32 v2, v0
	s_wait_alu 0xfffe
	s_or_b32 s4, vcc_lo, s4
	s_wait_alu 0xfffe
	s_and_not1_b32 exec_lo, exec_lo, s4
	s_cbranch_execnz .LBB7_764
.LBB7_765:
	s_wait_alu 0xfffe
	s_or_b32 exec_lo, exec_lo, s6
.LBB7_766:
	s_getpc_b64 s[0:1]
	s_wait_alu 0xfffe
	s_sext_i32_i16 s1, s1
	s_add_co_u32 s0, s0, .str.29@rel32@lo+12
	s_wait_alu 0xfffe
	s_add_co_ci_u32 s1, s1, .str.29@rel32@hi+24
	s_getpc_b64 s[2:3]
	s_wait_alu 0xfffe
	s_sext_i32_i16 s3, s3
	s_add_co_u32 s2, s2, .str.19@rel32@lo+12
	s_wait_alu 0xfffe
	s_add_co_ci_u32 s3, s3, .str.19@rel32@hi+24
	s_getpc_b64 s[4:5]
	s_wait_alu 0xfffe
	s_sext_i32_i16 s5, s5
	s_add_co_u32 s4, s4, __PRETTY_FUNCTION__._ZN7VecsMemIjLi8192EE5fetchEi@rel32@lo+12
	s_wait_alu 0xfffe
	s_add_co_ci_u32 s5, s5, __PRETTY_FUNCTION__._ZN7VecsMemIjLi8192EE5fetchEi@rel32@hi+24
	s_wait_loadcnt 0x0
	v_dual_mov_b32 v0, s0 :: v_dual_mov_b32 v1, s1
	v_dual_mov_b32 v2, s2 :: v_dual_mov_b32 v3, s3
	v_dual_mov_b32 v4, 12 :: v_dual_mov_b32 v5, s4
	s_wait_alu 0xfffe
	v_mov_b32_e32 v6, s5
	s_getpc_b64 s[6:7]
	s_wait_alu 0xfffe
	s_sext_i32_i16 s7, s7
	s_add_co_u32 s6, s6, __assert_fail@rel32@lo+12
	s_wait_alu 0xfffe
	s_add_co_ci_u32 s7, s7, __assert_fail@rel32@hi+24
	s_mov_b64 s[8:9], s[84:85]
	s_wait_alu 0xfffe
	s_swappc_b64 s[30:31], s[6:7]
	s_or_b32 s17, s17, exec_lo
	s_or_b32 exec_lo, exec_lo, s26
	s_and_saveexec_b32 s0, s24
	s_wait_alu 0xfffe
	s_xor_b32 s24, exec_lo, s0
	s_cbranch_execz .LBB7_345
.LBB7_767:
	s_getpc_b64 s[0:1]
	s_wait_alu 0xfffe
	s_sext_i32_i16 s1, s1
	s_add_co_u32 s0, s0, .str.30@rel32@lo+12
	s_wait_alu 0xfffe
	s_add_co_ci_u32 s1, s1, .str.30@rel32@hi+24
	s_getpc_b64 s[2:3]
	s_wait_alu 0xfffe
	s_sext_i32_i16 s3, s3
	s_add_co_u32 s2, s2, .str.31@rel32@lo+12
	s_wait_alu 0xfffe
	s_add_co_ci_u32 s3, s3, .str.31@rel32@hi+24
	s_getpc_b64 s[4:5]
	s_wait_alu 0xfffe
	s_sext_i32_i16 s5, s5
	s_add_co_u32 s4, s4, __PRETTY_FUNCTION__._ZN3sop9sopFactorEPjiiPKiiP7VecsMemIjLi8192EEPN8subgUtil4SubgILi256EEE@rel32@lo+12
	s_wait_alu 0xfffe
	s_add_co_ci_u32 s5, s5, __PRETTY_FUNCTION__._ZN3sop9sopFactorEPjiiPKiiP7VecsMemIjLi8192EEPN8subgUtil4SubgILi256EEE@rel32@hi+24
	v_dual_mov_b32 v0, s0 :: v_dual_mov_b32 v1, s1
	v_dual_mov_b32 v2, s2 :: v_dual_mov_b32 v3, s3
	;; [unrolled: 1-line block ×3, first 2 shown]
	s_wait_loadcnt 0x0
	s_wait_alu 0xfffe
	v_mov_b32_e32 v6, s5
	s_getpc_b64 s[6:7]
	s_wait_alu 0xfffe
	s_sext_i32_i16 s7, s7
	s_add_co_u32 s6, s6, __assert_fail@rel32@lo+12
	s_wait_alu 0xfffe
	s_add_co_ci_u32 s7, s7, __assert_fail@rel32@hi+24
	s_mov_b64 s[8:9], s[84:85]
	s_wait_alu 0xfffe
	s_swappc_b64 s[30:31], s[6:7]
	s_or_b32 s17, s17, exec_lo
	s_or_b32 exec_lo, exec_lo, s24
	s_and_saveexec_b32 s24, s23
	s_cbranch_execz .LBB7_346
.LBB7_768:
	s_getpc_b64 s[0:1]
	s_wait_alu 0xfffe
	s_sext_i32_i16 s1, s1
	s_add_co_u32 s0, s0, .str.18@rel32@lo+12
	s_wait_alu 0xfffe
	s_add_co_ci_u32 s1, s1, .str.18@rel32@hi+24
	s_getpc_b64 s[2:3]
	s_wait_alu 0xfffe
	s_sext_i32_i16 s3, s3
	s_add_co_u32 s2, s2, .str.19@rel32@lo+12
	s_wait_alu 0xfffe
	s_add_co_ci_u32 s3, s3, .str.19@rel32@hi+24
	s_getpc_b64 s[4:5]
	s_wait_alu 0xfffe
	s_sext_i32_i16 s5, s5
	s_add_co_u32 s4, s4, __PRETTY_FUNCTION__._ZN7VecsMemIjLi8192EE6shrinkEi@rel32@lo+12
	s_wait_alu 0xfffe
	s_add_co_ci_u32 s5, s5, __PRETTY_FUNCTION__._ZN7VecsMemIjLi8192EE6shrinkEi@rel32@hi+24
	v_dual_mov_b32 v0, s0 :: v_dual_mov_b32 v1, s1
	v_dual_mov_b32 v2, s2 :: v_dual_mov_b32 v3, s3
	;; [unrolled: 1-line block ×3, first 2 shown]
	s_wait_loadcnt 0x0
	s_wait_alu 0xfffe
	v_mov_b32_e32 v6, s5
	s_getpc_b64 s[6:7]
	s_wait_alu 0xfffe
	s_sext_i32_i16 s7, s7
	s_add_co_u32 s6, s6, __assert_fail@rel32@lo+12
	s_wait_alu 0xfffe
	s_add_co_ci_u32 s7, s7, __assert_fail@rel32@hi+24
	s_mov_b64 s[8:9], s[84:85]
	s_wait_alu 0xfffe
	s_swappc_b64 s[30:31], s[6:7]
	s_or_b32 s17, s17, exec_lo
	s_or_b32 exec_lo, exec_lo, s24
	s_and_saveexec_b32 s0, s22
	s_wait_alu 0xfffe
	s_xor_b32 s22, exec_lo, s0
	s_cbranch_execz .LBB7_347
.LBB7_769:
	s_getpc_b64 s[0:1]
	s_wait_alu 0xfffe
	s_sext_i32_i16 s1, s1
	s_add_co_u32 s0, s0, .str.18@rel32@lo+12
	s_wait_alu 0xfffe
	s_add_co_ci_u32 s1, s1, .str.18@rel32@hi+24
	s_getpc_b64 s[2:3]
	s_wait_alu 0xfffe
	s_sext_i32_i16 s3, s3
	s_add_co_u32 s2, s2, .str.19@rel32@lo+12
	s_wait_alu 0xfffe
	s_add_co_ci_u32 s3, s3, .str.19@rel32@hi+24
	s_getpc_b64 s[4:5]
	s_wait_alu 0xfffe
	s_sext_i32_i16 s5, s5
	s_add_co_u32 s4, s4, __PRETTY_FUNCTION__._ZN7VecsMemIjLi8192EE6shrinkEi@rel32@lo+12
	s_wait_alu 0xfffe
	s_add_co_ci_u32 s5, s5, __PRETTY_FUNCTION__._ZN7VecsMemIjLi8192EE6shrinkEi@rel32@hi+24
	v_dual_mov_b32 v0, s0 :: v_dual_mov_b32 v1, s1
	v_dual_mov_b32 v2, s2 :: v_dual_mov_b32 v3, s3
	v_dual_mov_b32 v4, 20 :: v_dual_mov_b32 v5, s4
	s_wait_loadcnt 0x0
	s_wait_alu 0xfffe
	v_mov_b32_e32 v6, s5
	s_getpc_b64 s[6:7]
	s_wait_alu 0xfffe
	s_sext_i32_i16 s7, s7
	s_add_co_u32 s6, s6, __assert_fail@rel32@lo+12
	s_wait_alu 0xfffe
	s_add_co_ci_u32 s7, s7, __assert_fail@rel32@hi+24
	s_mov_b64 s[8:9], s[84:85]
	s_wait_alu 0xfffe
	s_swappc_b64 s[30:31], s[6:7]
	s_or_b32 s17, s17, exec_lo
	s_or_b32 exec_lo, exec_lo, s22
	s_and_saveexec_b32 s0, s21
	s_wait_alu 0xfffe
	s_xor_b32 s21, exec_lo, s0
	s_cbranch_execz .LBB7_348
.LBB7_770:
	s_getpc_b64 s[0:1]
	s_wait_alu 0xfffe
	s_sext_i32_i16 s1, s1
	s_add_co_u32 s0, s0, .str.17@rel32@lo+12
	s_wait_alu 0xfffe
	s_add_co_ci_u32 s1, s1, .str.17@rel32@hi+24
	s_getpc_b64 s[2:3]
	s_wait_alu 0xfffe
	s_sext_i32_i16 s3, s3
	s_add_co_u32 s2, s2, .str.16@rel32@lo+12
	s_wait_alu 0xfffe
	s_add_co_ci_u32 s3, s3, .str.16@rel32@hi+24
	s_getpc_b64 s[4:5]
	s_wait_alu 0xfffe
	s_sext_i32_i16 s5, s5
	s_add_co_u32 s4, s4, __PRETTY_FUNCTION__._ZN3sop10minatoIsopEPKjiP7VecsMemIjLi8192EE@rel32@lo+12
	s_wait_alu 0xfffe
	s_add_co_ci_u32 s5, s5, __PRETTY_FUNCTION__._ZN3sop10minatoIsopEPKjiP7VecsMemIjLi8192EE@rel32@hi+24
	v_dual_mov_b32 v0, s0 :: v_dual_mov_b32 v1, s1
	v_dual_mov_b32 v2, s2 :: v_dual_mov_b32 v3, s3
	;; [unrolled: 1-line block ×3, first 2 shown]
	s_wait_loadcnt 0x0
	s_wait_alu 0xfffe
	v_mov_b32_e32 v6, s5
	s_getpc_b64 s[6:7]
	s_wait_alu 0xfffe
	s_sext_i32_i16 s7, s7
	s_add_co_u32 s6, s6, __assert_fail@rel32@lo+12
	s_wait_alu 0xfffe
	s_add_co_ci_u32 s7, s7, __assert_fail@rel32@hi+24
	s_mov_b64 s[8:9], s[84:85]
	s_wait_alu 0xfffe
	s_swappc_b64 s[30:31], s[6:7]
	s_or_b32 s17, s17, exec_lo
	s_or_b32 exec_lo, exec_lo, s21
	s_and_saveexec_b32 s21, s20
	s_cbranch_execz .LBB7_349
.LBB7_771:
	s_load_b64 s[2:3], s[84:85], 0x50
	v_mbcnt_lo_u32_b32 v31, -1, 0
	s_wait_loadcnt 0x0
	v_mov_b32_e32 v6, 0
	v_mov_b32_e32 v7, 0
	s_delay_alu instid0(VALU_DEP_3) | instskip(SKIP_1) | instid1(VALU_DEP_1)
	v_readfirstlane_b32 s0, v31
	s_wait_alu 0xf1ff
	v_cmp_eq_u32_e64 s0, s0, v31
	s_and_saveexec_b32 s1, s0
	s_cbranch_execz .LBB7_777
; %bb.772:
	v_mov_b32_e32 v0, 0
	s_mov_b32 s4, exec_lo
	s_wait_kmcnt 0x0
	global_load_b64 v[3:4], v0, s[2:3] offset:24 scope:SCOPE_SYS
	s_wait_loadcnt 0x0
	global_inv scope:SCOPE_SYS
	s_clause 0x1
	global_load_b64 v[1:2], v0, s[2:3] offset:40
	global_load_b64 v[5:6], v0, s[2:3]
	s_wait_loadcnt 0x1
	v_and_b32_e32 v2, v2, v4
	v_and_b32_e32 v1, v1, v3
	s_delay_alu instid0(VALU_DEP_2) | instskip(NEXT) | instid1(VALU_DEP_2)
	v_mul_lo_u32 v2, 24, v2
	v_mul_lo_u32 v7, 0, v1
	v_mul_hi_u32 v8, 24, v1
	v_mul_lo_u32 v1, 24, v1
	s_delay_alu instid0(VALU_DEP_3) | instskip(SKIP_1) | instid1(VALU_DEP_2)
	v_add_nc_u32_e32 v2, v2, v7
	s_wait_loadcnt 0x0
	v_add_co_u32 v1, vcc_lo, v5, v1
	s_delay_alu instid0(VALU_DEP_2) | instskip(SKIP_1) | instid1(VALU_DEP_1)
	v_add_nc_u32_e32 v2, v2, v8
	s_wait_alu 0xfffd
	v_add_co_ci_u32_e64 v2, null, v6, v2, vcc_lo
	global_load_b64 v[1:2], v[1:2], off scope:SCOPE_SYS
	s_wait_loadcnt 0x0
	global_atomic_cmpswap_b64 v[6:7], v0, v[1:4], s[2:3] offset:24 th:TH_ATOMIC_RETURN scope:SCOPE_SYS
	s_wait_loadcnt 0x0
	global_inv scope:SCOPE_SYS
	v_cmpx_ne_u64_e64 v[6:7], v[3:4]
	s_cbranch_execz .LBB7_776
; %bb.773:
	s_mov_b32 s5, 0
.LBB7_774:                              ; =>This Inner Loop Header: Depth=1
	s_sleep 1
	s_clause 0x1
	global_load_b64 v[1:2], v0, s[2:3] offset:40
	global_load_b64 v[8:9], v0, s[2:3]
	v_dual_mov_b32 v3, v6 :: v_dual_mov_b32 v4, v7
	s_wait_loadcnt 0x1
	s_delay_alu instid0(VALU_DEP_1) | instskip(NEXT) | instid1(VALU_DEP_2)
	v_and_b32_e32 v1, v1, v3
	v_and_b32_e32 v2, v2, v4
	s_wait_loadcnt 0x0
	s_delay_alu instid0(VALU_DEP_2) | instskip(NEXT) | instid1(VALU_DEP_1)
	v_mad_co_u64_u32 v[5:6], null, v1, 24, v[8:9]
	v_mov_b32_e32 v1, v6
	s_delay_alu instid0(VALU_DEP_1) | instskip(NEXT) | instid1(VALU_DEP_1)
	v_mad_co_u64_u32 v[1:2], null, v2, 24, v[1:2]
	v_mov_b32_e32 v6, v1
	global_load_b64 v[1:2], v[5:6], off scope:SCOPE_SYS
	s_wait_loadcnt 0x0
	global_atomic_cmpswap_b64 v[6:7], v0, v[1:4], s[2:3] offset:24 th:TH_ATOMIC_RETURN scope:SCOPE_SYS
	s_wait_loadcnt 0x0
	global_inv scope:SCOPE_SYS
	v_cmp_eq_u64_e32 vcc_lo, v[6:7], v[3:4]
	s_wait_alu 0xfffe
	s_or_b32 s5, vcc_lo, s5
	s_wait_alu 0xfffe
	s_and_not1_b32 exec_lo, exec_lo, s5
	s_cbranch_execnz .LBB7_774
; %bb.775:
	s_or_b32 exec_lo, exec_lo, s5
.LBB7_776:
	s_wait_alu 0xfffe
	s_or_b32 exec_lo, exec_lo, s4
.LBB7_777:
	s_wait_alu 0xfffe
	s_or_b32 exec_lo, exec_lo, s1
	v_readfirstlane_b32 s4, v6
	v_mov_b32_e32 v5, 0
	v_readfirstlane_b32 s5, v7
	s_mov_b32 s1, exec_lo
	s_wait_kmcnt 0x0
	s_clause 0x1
	global_load_b64 v[8:9], v5, s[2:3] offset:40
	global_load_b128 v[0:3], v5, s[2:3]
	s_wait_loadcnt 0x1
	s_wait_alu 0xf1ff
	v_and_b32_e32 v11, s5, v9
	v_and_b32_e32 v10, s4, v8
	s_delay_alu instid0(VALU_DEP_2) | instskip(NEXT) | instid1(VALU_DEP_2)
	v_mul_lo_u32 v4, 24, v11
	v_mul_lo_u32 v6, 0, v10
	v_mul_hi_u32 v7, 24, v10
	v_mul_lo_u32 v8, 24, v10
	s_delay_alu instid0(VALU_DEP_3) | instskip(SKIP_1) | instid1(VALU_DEP_2)
	v_add_nc_u32_e32 v4, v4, v6
	s_wait_loadcnt 0x0
	v_add_co_u32 v8, vcc_lo, v0, v8
	s_delay_alu instid0(VALU_DEP_2) | instskip(SKIP_1) | instid1(VALU_DEP_1)
	v_add_nc_u32_e32 v4, v4, v7
	s_wait_alu 0xfffd
	v_add_co_ci_u32_e64 v9, null, v1, v4, vcc_lo
	s_and_saveexec_b32 s6, s0
	s_cbranch_execz .LBB7_779
; %bb.778:
	s_wait_alu 0xfffe
	v_dual_mov_b32 v4, s1 :: v_dual_mov_b32 v7, 1
	v_mov_b32_e32 v6, 2
	global_store_b128 v[8:9], v[4:7], off offset:8
.LBB7_779:
	s_wait_alu 0xfffe
	s_or_b32 exec_lo, exec_lo, s6
	v_lshlrev_b64_e32 v[10:11], 12, v[10:11]
	v_dual_mov_b32 v7, v5 :: v_dual_lshlrev_b32 v30, 6, v31
	s_mov_b32 s8, 0
	s_wait_alu 0xfffe
	s_mov_b32 s11, s8
	s_delay_alu instid0(VALU_DEP_2)
	v_add_co_u32 v2, vcc_lo, v2, v10
	s_wait_alu 0xfffd
	v_add_co_ci_u32_e64 v3, null, v3, v11, vcc_lo
	s_mov_b32 s9, s8
	v_add_co_u32 v10, vcc_lo, v2, v30
	s_mov_b32 s10, s8
	s_wait_alu 0xfffe
	v_dual_mov_b32 v4, 33 :: v_dual_mov_b32 v15, s11
	v_dual_mov_b32 v6, v5 :: v_dual_mov_b32 v13, s9
	v_readfirstlane_b32 s6, v2
	v_readfirstlane_b32 s7, v3
	s_wait_alu 0xfffd
	v_add_co_ci_u32_e64 v11, null, 0, v3, vcc_lo
	v_mov_b32_e32 v14, s10
	v_mov_b32_e32 v12, s8
	s_clause 0x3
	global_store_b128 v30, v[4:7], s[6:7]
	global_store_b128 v30, v[12:15], s[6:7] offset:16
	global_store_b128 v30, v[12:15], s[6:7] offset:32
	;; [unrolled: 1-line block ×3, first 2 shown]
	s_and_saveexec_b32 s1, s0
	s_cbranch_execz .LBB7_787
; %bb.780:
	v_mov_b32_e32 v6, 0
	s_mov_b32 s6, exec_lo
	s_clause 0x1
	global_load_b64 v[14:15], v6, s[2:3] offset:32 scope:SCOPE_SYS
	global_load_b64 v[2:3], v6, s[2:3] offset:40
	v_dual_mov_b32 v13, s5 :: v_dual_mov_b32 v12, s4
	s_wait_loadcnt 0x0
	v_and_b32_e32 v3, s5, v3
	v_and_b32_e32 v2, s4, v2
	s_delay_alu instid0(VALU_DEP_2) | instskip(NEXT) | instid1(VALU_DEP_2)
	v_mul_lo_u32 v3, 24, v3
	v_mul_lo_u32 v4, 0, v2
	v_mul_hi_u32 v5, 24, v2
	v_mul_lo_u32 v2, 24, v2
	s_delay_alu instid0(VALU_DEP_3) | instskip(NEXT) | instid1(VALU_DEP_2)
	v_add_nc_u32_e32 v3, v3, v4
	v_add_co_u32 v4, vcc_lo, v0, v2
	s_delay_alu instid0(VALU_DEP_2) | instskip(SKIP_1) | instid1(VALU_DEP_1)
	v_add_nc_u32_e32 v3, v3, v5
	s_wait_alu 0xfffd
	v_add_co_ci_u32_e64 v5, null, v1, v3, vcc_lo
	global_store_b64 v[4:5], v[14:15], off
	global_wb scope:SCOPE_SYS
	s_wait_storecnt 0x0
	global_atomic_cmpswap_b64 v[2:3], v6, v[12:15], s[2:3] offset:32 th:TH_ATOMIC_RETURN scope:SCOPE_SYS
	s_wait_loadcnt 0x0
	v_cmpx_ne_u64_e64 v[2:3], v[14:15]
	s_cbranch_execz .LBB7_783
; %bb.781:
	s_mov_b32 s7, 0
.LBB7_782:                              ; =>This Inner Loop Header: Depth=1
	v_dual_mov_b32 v0, s4 :: v_dual_mov_b32 v1, s5
	s_sleep 1
	global_store_b64 v[4:5], v[2:3], off
	global_wb scope:SCOPE_SYS
	s_wait_storecnt 0x0
	global_atomic_cmpswap_b64 v[0:1], v6, v[0:3], s[2:3] offset:32 th:TH_ATOMIC_RETURN scope:SCOPE_SYS
	s_wait_loadcnt 0x0
	v_cmp_eq_u64_e32 vcc_lo, v[0:1], v[2:3]
	v_dual_mov_b32 v3, v1 :: v_dual_mov_b32 v2, v0
	s_wait_alu 0xfffe
	s_or_b32 s7, vcc_lo, s7
	s_wait_alu 0xfffe
	s_and_not1_b32 exec_lo, exec_lo, s7
	s_cbranch_execnz .LBB7_782
.LBB7_783:
	s_wait_alu 0xfffe
	s_or_b32 exec_lo, exec_lo, s6
	v_mov_b32_e32 v3, 0
	s_mov_b32 s7, exec_lo
	s_mov_b32 s6, exec_lo
	s_wait_alu 0xfffe
	v_mbcnt_lo_u32_b32 v2, s7, 0
	global_load_b64 v[0:1], v3, s[2:3] offset:16
	v_cmpx_eq_u32_e32 0, v2
	s_cbranch_execz .LBB7_785
; %bb.784:
	s_bcnt1_i32_b32 s7, s7
	s_wait_alu 0xfffe
	v_mov_b32_e32 v2, s7
	global_wb scope:SCOPE_SYS
	s_wait_loadcnt 0x0
	s_wait_storecnt 0x0
	global_atomic_add_u64 v[0:1], v[2:3], off offset:8 scope:SCOPE_SYS
.LBB7_785:
	s_or_b32 exec_lo, exec_lo, s6
	s_wait_loadcnt 0x0
	global_load_b64 v[2:3], v[0:1], off offset:16
	s_wait_loadcnt 0x0
	v_cmp_eq_u64_e32 vcc_lo, 0, v[2:3]
	s_cbranch_vccnz .LBB7_787
; %bb.786:
	global_load_b32 v0, v[0:1], off offset:24
	v_mov_b32_e32 v1, 0
	s_wait_loadcnt 0x0
	v_readfirstlane_b32 s6, v0
	global_wb scope:SCOPE_SYS
	s_wait_storecnt 0x0
	global_store_b64 v[2:3], v[0:1], off scope:SCOPE_SYS
	s_and_b32 m0, s6, 0xffffff
	s_sendmsg sendmsg(MSG_INTERRUPT)
.LBB7_787:
	s_wait_alu 0xfffe
	s_or_b32 exec_lo, exec_lo, s1
	s_branch .LBB7_791
.LBB7_788:                              ;   in Loop: Header=BB7_791 Depth=1
	s_wait_alu 0xfffe
	s_or_b32 exec_lo, exec_lo, s1
	s_delay_alu instid0(VALU_DEP_1)
	v_readfirstlane_b32 s1, v0
	s_cmp_eq_u32 s1, 0
	s_cbranch_scc1 .LBB7_790
; %bb.789:                              ;   in Loop: Header=BB7_791 Depth=1
	s_sleep 1
	s_cbranch_execnz .LBB7_791
	s_branch .LBB7_793
.LBB7_790:
	s_branch .LBB7_793
.LBB7_791:                              ; =>This Inner Loop Header: Depth=1
	v_mov_b32_e32 v0, 1
	s_and_saveexec_b32 s1, s0
	s_cbranch_execz .LBB7_788
; %bb.792:                              ;   in Loop: Header=BB7_791 Depth=1
	global_load_b32 v0, v[8:9], off offset:20 scope:SCOPE_SYS
	s_wait_loadcnt 0x0
	global_inv scope:SCOPE_SYS
	v_and_b32_e32 v0, 1, v0
	s_branch .LBB7_788
.LBB7_793:
	global_load_b64 v[0:1], v[10:11], off
	s_and_saveexec_b32 s6, s0
	s_cbranch_execz .LBB7_797
; %bb.794:
	v_mov_b32_e32 v8, 0
	s_clause 0x2
	global_load_b64 v[2:3], v8, s[2:3] offset:40
	global_load_b64 v[11:12], v8, s[2:3] offset:24 scope:SCOPE_SYS
	global_load_b64 v[4:5], v8, s[2:3]
	s_wait_loadcnt 0x2
	v_readfirstlane_b32 s8, v2
	v_readfirstlane_b32 s9, v3
	s_add_nc_u64 s[0:1], s[8:9], 1
	s_wait_alu 0xfffe
	s_add_nc_u64 s[4:5], s[0:1], s[4:5]
	s_wait_alu 0xfffe
	s_cmp_eq_u64 s[4:5], 0
	s_cselect_b32 s1, s1, s5
	s_cselect_b32 s0, s0, s4
	s_wait_alu 0xfffe
	v_mov_b32_e32 v10, s1
	s_and_b64 s[4:5], s[0:1], s[8:9]
	v_mov_b32_e32 v9, s0
	s_wait_alu 0xfffe
	s_mul_u64 s[4:5], s[4:5], 24
	s_wait_loadcnt 0x0
	s_wait_alu 0xfffe
	v_add_co_u32 v6, vcc_lo, v4, s4
	s_wait_alu 0xfffd
	v_add_co_ci_u32_e64 v7, null, s5, v5, vcc_lo
	global_store_b64 v[6:7], v[11:12], off
	global_wb scope:SCOPE_SYS
	s_wait_storecnt 0x0
	global_atomic_cmpswap_b64 v[4:5], v8, v[9:12], s[2:3] offset:24 th:TH_ATOMIC_RETURN scope:SCOPE_SYS
	s_wait_loadcnt 0x0
	v_cmp_ne_u64_e32 vcc_lo, v[4:5], v[11:12]
	s_and_b32 exec_lo, exec_lo, vcc_lo
	s_cbranch_execz .LBB7_797
; %bb.795:
	s_mov_b32 s4, 0
.LBB7_796:                              ; =>This Inner Loop Header: Depth=1
	v_dual_mov_b32 v2, s0 :: v_dual_mov_b32 v3, s1
	s_sleep 1
	global_store_b64 v[6:7], v[4:5], off
	global_wb scope:SCOPE_SYS
	s_wait_storecnt 0x0
	global_atomic_cmpswap_b64 v[2:3], v8, v[2:5], s[2:3] offset:24 th:TH_ATOMIC_RETURN scope:SCOPE_SYS
	s_wait_loadcnt 0x0
	v_cmp_eq_u64_e32 vcc_lo, v[2:3], v[4:5]
	v_dual_mov_b32 v5, v3 :: v_dual_mov_b32 v4, v2
	s_wait_alu 0xfffe
	s_or_b32 s4, vcc_lo, s4
	s_wait_alu 0xfffe
	s_and_not1_b32 exec_lo, exec_lo, s4
	s_cbranch_execnz .LBB7_796
.LBB7_797:
	s_wait_alu 0xfffe
	s_or_b32 exec_lo, exec_lo, s6
	s_getpc_b64 s[4:5]
	s_wait_alu 0xfffe
	s_sext_i32_i16 s5, s5
	s_add_co_u32 s4, s4, .str.28@rel32@lo+12
	s_wait_alu 0xfffe
	s_add_co_ci_u32 s5, s5, .str.28@rel32@hi+24
	s_wait_alu 0xfffe
	s_cmp_lg_u64 s[4:5], 0
	s_cbranch_scc0 .LBB7_876
; %bb.798:
	s_wait_loadcnt 0x0
	v_dual_mov_b32 v7, v1 :: v_dual_and_b32 v6, -3, v0
	v_dual_mov_b32 v3, 0 :: v_dual_mov_b32 v4, 2
	v_mov_b32_e32 v5, 1
	s_mov_b64 s[6:7], 35
	s_branch .LBB7_800
.LBB7_799:                              ;   in Loop: Header=BB7_800 Depth=1
	s_wait_alu 0xfffe
	s_or_b32 exec_lo, exec_lo, s12
	s_sub_nc_u64 s[6:7], s[6:7], s[8:9]
	s_add_nc_u64 s[4:5], s[4:5], s[8:9]
	s_wait_alu 0xfffe
	s_cmp_lg_u64 s[6:7], 0
	s_cbranch_scc0 .LBB7_875
.LBB7_800:                              ; =>This Loop Header: Depth=1
                                        ;     Child Loop BB7_803 Depth 2
                                        ;     Child Loop BB7_810 Depth 2
	;; [unrolled: 1-line block ×11, first 2 shown]
	s_wait_alu 0xfffe
	v_cmp_lt_u64_e64 s0, s[6:7], 56
	v_cmp_gt_u64_e64 s1, s[6:7], 7
	s_and_b32 s0, s0, exec_lo
	s_cselect_b32 s9, s7, 0
	s_cselect_b32 s8, s6, 56
	s_and_b32 vcc_lo, exec_lo, s1
	s_wait_alu 0xfffe
	s_cbranch_vccnz .LBB7_805
; %bb.801:                              ;   in Loop: Header=BB7_800 Depth=1
	s_wait_loadcnt 0x0
	v_mov_b32_e32 v8, 0
	v_mov_b32_e32 v9, 0
	s_cmp_eq_u64 s[6:7], 0
	s_cbranch_scc1 .LBB7_804
; %bb.802:                              ;   in Loop: Header=BB7_800 Depth=1
	s_mov_b64 s[0:1], 0
	s_mov_b64 s[10:11], 0
.LBB7_803:                              ;   Parent Loop BB7_800 Depth=1
                                        ; =>  This Inner Loop Header: Depth=2
	s_wait_alu 0xfffe
	s_add_nc_u64 s[12:13], s[4:5], s[10:11]
	s_add_nc_u64 s[10:11], s[10:11], 1
	global_load_u8 v2, v3, s[12:13]
	s_wait_alu 0xfffe
	s_cmp_lg_u32 s8, s10
	s_wait_loadcnt 0x0
	v_and_b32_e32 v2, 0xffff, v2
	s_delay_alu instid0(VALU_DEP_1) | instskip(SKIP_1) | instid1(VALU_DEP_1)
	v_lshlrev_b64_e32 v[10:11], s0, v[2:3]
	s_add_nc_u64 s[0:1], s[0:1], 8
	v_or_b32_e32 v8, v10, v8
	s_delay_alu instid0(VALU_DEP_2)
	v_or_b32_e32 v9, v11, v9
	s_cbranch_scc1 .LBB7_803
.LBB7_804:                              ;   in Loop: Header=BB7_800 Depth=1
	s_mov_b64 s[10:11], s[4:5]
	s_mov_b32 s14, 0
	s_cbranch_execz .LBB7_806
	s_branch .LBB7_807
.LBB7_805:                              ;   in Loop: Header=BB7_800 Depth=1
	s_add_nc_u64 s[10:11], s[4:5], 8
	s_mov_b32 s14, 0
.LBB7_806:                              ;   in Loop: Header=BB7_800 Depth=1
	s_wait_loadcnt 0x0
	global_load_b64 v[8:9], v3, s[4:5]
	s_add_co_i32 s14, s8, -8
.LBB7_807:                              ;   in Loop: Header=BB7_800 Depth=1
	s_wait_alu 0xfffe
	s_cmp_gt_u32 s14, 7
	s_cbranch_scc1 .LBB7_812
; %bb.808:                              ;   in Loop: Header=BB7_800 Depth=1
	v_mov_b32_e32 v10, 0
	v_mov_b32_e32 v11, 0
	s_cmp_eq_u32 s14, 0
	s_cbranch_scc1 .LBB7_811
; %bb.809:                              ;   in Loop: Header=BB7_800 Depth=1
	s_mov_b64 s[0:1], 0
	s_mov_b64 s[12:13], 0
.LBB7_810:                              ;   Parent Loop BB7_800 Depth=1
                                        ; =>  This Inner Loop Header: Depth=2
	s_wait_alu 0xfffe
	s_add_nc_u64 s[22:23], s[10:11], s[12:13]
	s_add_nc_u64 s[12:13], s[12:13], 1
	global_load_u8 v2, v3, s[22:23]
	s_wait_alu 0xfffe
	s_cmp_lg_u32 s14, s12
	s_wait_loadcnt 0x0
	v_and_b32_e32 v2, 0xffff, v2
	s_delay_alu instid0(VALU_DEP_1) | instskip(SKIP_1) | instid1(VALU_DEP_1)
	v_lshlrev_b64_e32 v[12:13], s0, v[2:3]
	s_add_nc_u64 s[0:1], s[0:1], 8
	v_or_b32_e32 v10, v12, v10
	s_delay_alu instid0(VALU_DEP_2)
	v_or_b32_e32 v11, v13, v11
	s_cbranch_scc1 .LBB7_810
.LBB7_811:                              ;   in Loop: Header=BB7_800 Depth=1
	s_mov_b64 s[0:1], s[10:11]
	s_mov_b32 s15, 0
	s_cbranch_execz .LBB7_813
	s_branch .LBB7_814
.LBB7_812:                              ;   in Loop: Header=BB7_800 Depth=1
	s_add_nc_u64 s[0:1], s[10:11], 8
                                        ; implicit-def: $vgpr10_vgpr11
	s_mov_b32 s15, 0
.LBB7_813:                              ;   in Loop: Header=BB7_800 Depth=1
	global_load_b64 v[10:11], v3, s[10:11]
	s_add_co_i32 s15, s14, -8
.LBB7_814:                              ;   in Loop: Header=BB7_800 Depth=1
	s_wait_alu 0xfffe
	s_cmp_gt_u32 s15, 7
	s_cbranch_scc1 .LBB7_819
; %bb.815:                              ;   in Loop: Header=BB7_800 Depth=1
	v_mov_b32_e32 v12, 0
	v_mov_b32_e32 v13, 0
	s_cmp_eq_u32 s15, 0
	s_cbranch_scc1 .LBB7_818
; %bb.816:                              ;   in Loop: Header=BB7_800 Depth=1
	s_mov_b64 s[10:11], 0
	s_mov_b64 s[12:13], 0
.LBB7_817:                              ;   Parent Loop BB7_800 Depth=1
                                        ; =>  This Inner Loop Header: Depth=2
	s_wait_alu 0xfffe
	s_add_nc_u64 s[22:23], s[0:1], s[12:13]
	s_add_nc_u64 s[12:13], s[12:13], 1
	global_load_u8 v2, v3, s[22:23]
	s_wait_alu 0xfffe
	s_cmp_lg_u32 s15, s12
	s_wait_loadcnt 0x0
	v_and_b32_e32 v2, 0xffff, v2
	s_delay_alu instid0(VALU_DEP_1) | instskip(SKIP_1) | instid1(VALU_DEP_1)
	v_lshlrev_b64_e32 v[14:15], s10, v[2:3]
	s_add_nc_u64 s[10:11], s[10:11], 8
	v_or_b32_e32 v12, v14, v12
	s_delay_alu instid0(VALU_DEP_2)
	v_or_b32_e32 v13, v15, v13
	s_cbranch_scc1 .LBB7_817
.LBB7_818:                              ;   in Loop: Header=BB7_800 Depth=1
	s_mov_b64 s[10:11], s[0:1]
	s_mov_b32 s14, 0
	s_cbranch_execz .LBB7_820
	s_branch .LBB7_821
.LBB7_819:                              ;   in Loop: Header=BB7_800 Depth=1
	s_add_nc_u64 s[10:11], s[0:1], 8
	s_mov_b32 s14, 0
.LBB7_820:                              ;   in Loop: Header=BB7_800 Depth=1
	global_load_b64 v[12:13], v3, s[0:1]
	s_add_co_i32 s14, s15, -8
.LBB7_821:                              ;   in Loop: Header=BB7_800 Depth=1
	s_wait_alu 0xfffe
	s_cmp_gt_u32 s14, 7
	s_cbranch_scc1 .LBB7_826
; %bb.822:                              ;   in Loop: Header=BB7_800 Depth=1
	v_mov_b32_e32 v14, 0
	v_mov_b32_e32 v15, 0
	s_cmp_eq_u32 s14, 0
	s_cbranch_scc1 .LBB7_825
; %bb.823:                              ;   in Loop: Header=BB7_800 Depth=1
	s_mov_b64 s[0:1], 0
	s_mov_b64 s[12:13], 0
.LBB7_824:                              ;   Parent Loop BB7_800 Depth=1
                                        ; =>  This Inner Loop Header: Depth=2
	s_wait_alu 0xfffe
	s_add_nc_u64 s[22:23], s[10:11], s[12:13]
	s_add_nc_u64 s[12:13], s[12:13], 1
	global_load_u8 v2, v3, s[22:23]
	s_wait_alu 0xfffe
	s_cmp_lg_u32 s14, s12
	s_wait_loadcnt 0x0
	v_and_b32_e32 v2, 0xffff, v2
	s_delay_alu instid0(VALU_DEP_1) | instskip(SKIP_1) | instid1(VALU_DEP_1)
	v_lshlrev_b64_e32 v[16:17], s0, v[2:3]
	s_add_nc_u64 s[0:1], s[0:1], 8
	v_or_b32_e32 v14, v16, v14
	s_delay_alu instid0(VALU_DEP_2)
	v_or_b32_e32 v15, v17, v15
	s_cbranch_scc1 .LBB7_824
.LBB7_825:                              ;   in Loop: Header=BB7_800 Depth=1
	s_mov_b64 s[0:1], s[10:11]
	s_mov_b32 s15, 0
	s_cbranch_execz .LBB7_827
	s_branch .LBB7_828
.LBB7_826:                              ;   in Loop: Header=BB7_800 Depth=1
	s_add_nc_u64 s[0:1], s[10:11], 8
                                        ; implicit-def: $vgpr14_vgpr15
	s_mov_b32 s15, 0
.LBB7_827:                              ;   in Loop: Header=BB7_800 Depth=1
	global_load_b64 v[14:15], v3, s[10:11]
	s_add_co_i32 s15, s14, -8
.LBB7_828:                              ;   in Loop: Header=BB7_800 Depth=1
	s_wait_alu 0xfffe
	s_cmp_gt_u32 s15, 7
	s_cbranch_scc1 .LBB7_833
; %bb.829:                              ;   in Loop: Header=BB7_800 Depth=1
	v_mov_b32_e32 v16, 0
	v_mov_b32_e32 v17, 0
	s_cmp_eq_u32 s15, 0
	s_cbranch_scc1 .LBB7_832
; %bb.830:                              ;   in Loop: Header=BB7_800 Depth=1
	s_mov_b64 s[10:11], 0
	s_mov_b64 s[12:13], 0
.LBB7_831:                              ;   Parent Loop BB7_800 Depth=1
                                        ; =>  This Inner Loop Header: Depth=2
	s_wait_alu 0xfffe
	s_add_nc_u64 s[22:23], s[0:1], s[12:13]
	s_add_nc_u64 s[12:13], s[12:13], 1
	global_load_u8 v2, v3, s[22:23]
	s_wait_alu 0xfffe
	s_cmp_lg_u32 s15, s12
	s_wait_loadcnt 0x0
	v_and_b32_e32 v2, 0xffff, v2
	s_delay_alu instid0(VALU_DEP_1) | instskip(SKIP_1) | instid1(VALU_DEP_1)
	v_lshlrev_b64_e32 v[18:19], s10, v[2:3]
	s_add_nc_u64 s[10:11], s[10:11], 8
	v_or_b32_e32 v16, v18, v16
	s_delay_alu instid0(VALU_DEP_2)
	v_or_b32_e32 v17, v19, v17
	s_cbranch_scc1 .LBB7_831
.LBB7_832:                              ;   in Loop: Header=BB7_800 Depth=1
	s_mov_b64 s[10:11], s[0:1]
	s_mov_b32 s14, 0
	s_cbranch_execz .LBB7_834
	s_branch .LBB7_835
.LBB7_833:                              ;   in Loop: Header=BB7_800 Depth=1
	s_add_nc_u64 s[10:11], s[0:1], 8
	s_mov_b32 s14, 0
.LBB7_834:                              ;   in Loop: Header=BB7_800 Depth=1
	global_load_b64 v[16:17], v3, s[0:1]
	s_add_co_i32 s14, s15, -8
.LBB7_835:                              ;   in Loop: Header=BB7_800 Depth=1
	s_wait_alu 0xfffe
	s_cmp_gt_u32 s14, 7
	s_cbranch_scc1 .LBB7_840
; %bb.836:                              ;   in Loop: Header=BB7_800 Depth=1
	v_mov_b32_e32 v18, 0
	v_mov_b32_e32 v19, 0
	s_cmp_eq_u32 s14, 0
	s_cbranch_scc1 .LBB7_839
; %bb.837:                              ;   in Loop: Header=BB7_800 Depth=1
	s_mov_b64 s[0:1], 0
	s_mov_b64 s[12:13], 0
.LBB7_838:                              ;   Parent Loop BB7_800 Depth=1
                                        ; =>  This Inner Loop Header: Depth=2
	s_wait_alu 0xfffe
	s_add_nc_u64 s[22:23], s[10:11], s[12:13]
	s_add_nc_u64 s[12:13], s[12:13], 1
	global_load_u8 v2, v3, s[22:23]
	s_wait_alu 0xfffe
	s_cmp_lg_u32 s14, s12
	s_wait_loadcnt 0x0
	v_and_b32_e32 v2, 0xffff, v2
	s_delay_alu instid0(VALU_DEP_1) | instskip(SKIP_1) | instid1(VALU_DEP_1)
	v_lshlrev_b64_e32 v[20:21], s0, v[2:3]
	s_add_nc_u64 s[0:1], s[0:1], 8
	v_or_b32_e32 v18, v20, v18
	s_delay_alu instid0(VALU_DEP_2)
	v_or_b32_e32 v19, v21, v19
	s_cbranch_scc1 .LBB7_838
.LBB7_839:                              ;   in Loop: Header=BB7_800 Depth=1
	s_mov_b64 s[0:1], s[10:11]
	s_mov_b32 s15, 0
	s_cbranch_execz .LBB7_841
	s_branch .LBB7_842
.LBB7_840:                              ;   in Loop: Header=BB7_800 Depth=1
	s_add_nc_u64 s[0:1], s[10:11], 8
                                        ; implicit-def: $vgpr18_vgpr19
	s_mov_b32 s15, 0
.LBB7_841:                              ;   in Loop: Header=BB7_800 Depth=1
	global_load_b64 v[18:19], v3, s[10:11]
	s_add_co_i32 s15, s14, -8
.LBB7_842:                              ;   in Loop: Header=BB7_800 Depth=1
	s_wait_alu 0xfffe
	s_cmp_gt_u32 s15, 7
	s_cbranch_scc1 .LBB7_847
; %bb.843:                              ;   in Loop: Header=BB7_800 Depth=1
	v_mov_b32_e32 v20, 0
	v_mov_b32_e32 v21, 0
	s_cmp_eq_u32 s15, 0
	s_cbranch_scc1 .LBB7_846
; %bb.844:                              ;   in Loop: Header=BB7_800 Depth=1
	s_mov_b64 s[10:11], 0
	s_mov_b64 s[12:13], s[0:1]
.LBB7_845:                              ;   Parent Loop BB7_800 Depth=1
                                        ; =>  This Inner Loop Header: Depth=2
	global_load_u8 v2, v3, s[12:13]
	s_add_co_i32 s15, s15, -1
	s_wait_alu 0xfffe
	s_add_nc_u64 s[12:13], s[12:13], 1
	s_cmp_lg_u32 s15, 0
	s_wait_loadcnt 0x0
	v_and_b32_e32 v2, 0xffff, v2
	s_delay_alu instid0(VALU_DEP_1) | instskip(SKIP_1) | instid1(VALU_DEP_1)
	v_lshlrev_b64_e32 v[22:23], s10, v[2:3]
	s_add_nc_u64 s[10:11], s[10:11], 8
	v_or_b32_e32 v20, v22, v20
	s_delay_alu instid0(VALU_DEP_2)
	v_or_b32_e32 v21, v23, v21
	s_cbranch_scc1 .LBB7_845
.LBB7_846:                              ;   in Loop: Header=BB7_800 Depth=1
	s_cbranch_execz .LBB7_848
	s_branch .LBB7_849
.LBB7_847:                              ;   in Loop: Header=BB7_800 Depth=1
.LBB7_848:                              ;   in Loop: Header=BB7_800 Depth=1
	global_load_b64 v[20:21], v3, s[0:1]
.LBB7_849:                              ;   in Loop: Header=BB7_800 Depth=1
	v_readfirstlane_b32 s0, v31
	v_mov_b32_e32 v26, 0
	v_mov_b32_e32 v27, 0
	s_wait_alu 0xf1ff
	s_delay_alu instid0(VALU_DEP_3)
	v_cmp_eq_u32_e64 s0, s0, v31
	s_and_saveexec_b32 s1, s0
	s_cbranch_execz .LBB7_855
; %bb.850:                              ;   in Loop: Header=BB7_800 Depth=1
	global_load_b64 v[24:25], v3, s[2:3] offset:24 scope:SCOPE_SYS
	s_wait_loadcnt 0x0
	global_inv scope:SCOPE_SYS
	s_clause 0x1
	global_load_b64 v[22:23], v3, s[2:3] offset:40
	global_load_b64 v[26:27], v3, s[2:3]
	s_mov_b32 s10, exec_lo
	s_wait_loadcnt 0x1
	v_and_b32_e32 v2, v23, v25
	v_and_b32_e32 v22, v22, v24
	s_delay_alu instid0(VALU_DEP_2) | instskip(NEXT) | instid1(VALU_DEP_2)
	v_mul_lo_u32 v2, 24, v2
	v_mul_lo_u32 v23, 0, v22
	v_mul_hi_u32 v28, 24, v22
	v_mul_lo_u32 v22, 24, v22
	s_delay_alu instid0(VALU_DEP_3) | instskip(SKIP_1) | instid1(VALU_DEP_2)
	v_add_nc_u32_e32 v2, v2, v23
	s_wait_loadcnt 0x0
	v_add_co_u32 v22, vcc_lo, v26, v22
	s_delay_alu instid0(VALU_DEP_2) | instskip(SKIP_1) | instid1(VALU_DEP_1)
	v_add_nc_u32_e32 v2, v2, v28
	s_wait_alu 0xfffd
	v_add_co_ci_u32_e64 v23, null, v27, v2, vcc_lo
	global_load_b64 v[22:23], v[22:23], off scope:SCOPE_SYS
	s_wait_loadcnt 0x0
	global_atomic_cmpswap_b64 v[26:27], v3, v[22:25], s[2:3] offset:24 th:TH_ATOMIC_RETURN scope:SCOPE_SYS
	s_wait_loadcnt 0x0
	global_inv scope:SCOPE_SYS
	v_cmpx_ne_u64_e64 v[26:27], v[24:25]
	s_cbranch_execz .LBB7_854
; %bb.851:                              ;   in Loop: Header=BB7_800 Depth=1
	s_mov_b32 s11, 0
.LBB7_852:                              ;   Parent Loop BB7_800 Depth=1
                                        ; =>  This Inner Loop Header: Depth=2
	s_sleep 1
	s_clause 0x1
	global_load_b64 v[22:23], v3, s[2:3] offset:40
	global_load_b64 v[28:29], v3, s[2:3]
	v_dual_mov_b32 v24, v26 :: v_dual_mov_b32 v25, v27
	s_wait_loadcnt 0x1
	s_delay_alu instid0(VALU_DEP_1) | instskip(NEXT) | instid1(VALU_DEP_2)
	v_and_b32_e32 v2, v22, v24
	v_and_b32_e32 v22, v23, v25
	s_wait_loadcnt 0x0
	s_delay_alu instid0(VALU_DEP_2) | instskip(NEXT) | instid1(VALU_DEP_1)
	v_mad_co_u64_u32 v[26:27], null, v2, 24, v[28:29]
	v_mov_b32_e32 v2, v27
	s_delay_alu instid0(VALU_DEP_1) | instskip(NEXT) | instid1(VALU_DEP_1)
	v_mad_co_u64_u32 v[22:23], null, v22, 24, v[2:3]
	v_mov_b32_e32 v27, v22
	global_load_b64 v[22:23], v[26:27], off scope:SCOPE_SYS
	s_wait_loadcnt 0x0
	global_atomic_cmpswap_b64 v[26:27], v3, v[22:25], s[2:3] offset:24 th:TH_ATOMIC_RETURN scope:SCOPE_SYS
	s_wait_loadcnt 0x0
	global_inv scope:SCOPE_SYS
	v_cmp_eq_u64_e32 vcc_lo, v[26:27], v[24:25]
	s_wait_alu 0xfffe
	s_or_b32 s11, vcc_lo, s11
	s_wait_alu 0xfffe
	s_and_not1_b32 exec_lo, exec_lo, s11
	s_cbranch_execnz .LBB7_852
; %bb.853:                              ;   in Loop: Header=BB7_800 Depth=1
	s_or_b32 exec_lo, exec_lo, s11
.LBB7_854:                              ;   in Loop: Header=BB7_800 Depth=1
	s_wait_alu 0xfffe
	s_or_b32 exec_lo, exec_lo, s10
.LBB7_855:                              ;   in Loop: Header=BB7_800 Depth=1
	s_wait_alu 0xfffe
	s_or_b32 exec_lo, exec_lo, s1
	s_clause 0x1
	global_load_b64 v[28:29], v3, s[2:3] offset:40
	global_load_b128 v[22:25], v3, s[2:3]
	v_readfirstlane_b32 s11, v27
	v_readfirstlane_b32 s10, v26
	s_mov_b32 s1, exec_lo
	s_wait_loadcnt 0x1
	s_wait_alu 0xf1ff
	v_and_b32_e32 v29, s11, v29
	v_and_b32_e32 v28, s10, v28
	s_delay_alu instid0(VALU_DEP_2) | instskip(NEXT) | instid1(VALU_DEP_2)
	v_mul_lo_u32 v2, 24, v29
	v_mul_lo_u32 v26, 0, v28
	v_mul_hi_u32 v27, 24, v28
	v_mul_lo_u32 v32, 24, v28
	s_delay_alu instid0(VALU_DEP_3) | instskip(SKIP_1) | instid1(VALU_DEP_2)
	v_add_nc_u32_e32 v2, v2, v26
	s_wait_loadcnt 0x0
	v_add_co_u32 v26, vcc_lo, v22, v32
	s_delay_alu instid0(VALU_DEP_2) | instskip(SKIP_1) | instid1(VALU_DEP_1)
	v_add_nc_u32_e32 v2, v2, v27
	s_wait_alu 0xfffd
	v_add_co_ci_u32_e64 v27, null, v23, v2, vcc_lo
	s_and_saveexec_b32 s12, s0
	s_cbranch_execz .LBB7_857
; %bb.856:                              ;   in Loop: Header=BB7_800 Depth=1
	s_wait_alu 0xfffe
	v_mov_b32_e32 v2, s1
	global_store_b128 v[26:27], v[2:5], off offset:8
.LBB7_857:                              ;   in Loop: Header=BB7_800 Depth=1
	s_wait_alu 0xfffe
	s_or_b32 exec_lo, exec_lo, s12
	v_cmp_gt_u64_e64 s1, s[6:7], 56
	v_lshlrev_b64_e32 v[28:29], 12, v[28:29]
	v_and_b32_e32 v2, 0xffffff1f, v6
	s_and_b32 s1, s1, exec_lo
	s_delay_alu instid0(VALU_DEP_2)
	v_add_co_u32 v24, vcc_lo, v24, v28
	s_cselect_b32 s1, 0, 2
	s_wait_alu 0xfffd
	v_add_co_ci_u32_e64 v25, null, v25, v29, vcc_lo
	s_wait_alu 0xfffe
	v_or_b32_e32 v2, s1, v2
	s_lshl_b32 s12, s8, 2
	s_wait_alu 0xfffe
	s_add_co_i32 s1, s12, 28
	v_readfirstlane_b32 s12, v24
	v_readfirstlane_b32 s13, v25
	s_wait_alu 0xfffe
	v_and_or_b32 v6, 0x1e0, s1, v2
	s_clause 0x3
	global_store_b128 v30, v[6:9], s[12:13]
	global_store_b128 v30, v[10:13], s[12:13] offset:16
	global_store_b128 v30, v[14:17], s[12:13] offset:32
	;; [unrolled: 1-line block ×3, first 2 shown]
	s_and_saveexec_b32 s1, s0
	s_cbranch_execz .LBB7_865
; %bb.858:                              ;   in Loop: Header=BB7_800 Depth=1
	s_clause 0x1
	global_load_b64 v[14:15], v3, s[2:3] offset:32 scope:SCOPE_SYS
	global_load_b64 v[6:7], v3, s[2:3] offset:40
	v_mov_b32_e32 v12, s10
	s_mov_b32 s12, exec_lo
	s_wait_loadcnt 0x0
	v_dual_mov_b32 v13, s11 :: v_dual_and_b32 v2, s11, v7
	v_and_b32_e32 v6, s10, v6
	s_delay_alu instid0(VALU_DEP_2) | instskip(NEXT) | instid1(VALU_DEP_2)
	v_mul_lo_u32 v2, 24, v2
	v_mul_lo_u32 v7, 0, v6
	v_mul_hi_u32 v8, 24, v6
	v_mul_lo_u32 v6, 24, v6
	s_delay_alu instid0(VALU_DEP_3) | instskip(NEXT) | instid1(VALU_DEP_2)
	v_add_nc_u32_e32 v2, v2, v7
	v_add_co_u32 v10, vcc_lo, v22, v6
	s_delay_alu instid0(VALU_DEP_2) | instskip(SKIP_1) | instid1(VALU_DEP_1)
	v_add_nc_u32_e32 v2, v2, v8
	s_wait_alu 0xfffd
	v_add_co_ci_u32_e64 v11, null, v23, v2, vcc_lo
	global_store_b64 v[10:11], v[14:15], off
	global_wb scope:SCOPE_SYS
	s_wait_storecnt 0x0
	global_atomic_cmpswap_b64 v[8:9], v3, v[12:15], s[2:3] offset:32 th:TH_ATOMIC_RETURN scope:SCOPE_SYS
	s_wait_loadcnt 0x0
	v_cmpx_ne_u64_e64 v[8:9], v[14:15]
	s_cbranch_execz .LBB7_861
; %bb.859:                              ;   in Loop: Header=BB7_800 Depth=1
	s_mov_b32 s13, 0
.LBB7_860:                              ;   Parent Loop BB7_800 Depth=1
                                        ; =>  This Inner Loop Header: Depth=2
	v_dual_mov_b32 v6, s10 :: v_dual_mov_b32 v7, s11
	s_sleep 1
	global_store_b64 v[10:11], v[8:9], off
	global_wb scope:SCOPE_SYS
	s_wait_storecnt 0x0
	global_atomic_cmpswap_b64 v[6:7], v3, v[6:9], s[2:3] offset:32 th:TH_ATOMIC_RETURN scope:SCOPE_SYS
	s_wait_loadcnt 0x0
	v_cmp_eq_u64_e32 vcc_lo, v[6:7], v[8:9]
	v_dual_mov_b32 v9, v7 :: v_dual_mov_b32 v8, v6
	s_wait_alu 0xfffe
	s_or_b32 s13, vcc_lo, s13
	s_wait_alu 0xfffe
	s_and_not1_b32 exec_lo, exec_lo, s13
	s_cbranch_execnz .LBB7_860
.LBB7_861:                              ;   in Loop: Header=BB7_800 Depth=1
	s_wait_alu 0xfffe
	s_or_b32 exec_lo, exec_lo, s12
	global_load_b64 v[6:7], v3, s[2:3] offset:16
	s_mov_b32 s13, exec_lo
	s_mov_b32 s12, exec_lo
	s_wait_alu 0xfffe
	v_mbcnt_lo_u32_b32 v2, s13, 0
	s_delay_alu instid0(VALU_DEP_1)
	v_cmpx_eq_u32_e32 0, v2
	s_cbranch_execz .LBB7_863
; %bb.862:                              ;   in Loop: Header=BB7_800 Depth=1
	s_bcnt1_i32_b32 s13, s13
	s_wait_alu 0xfffe
	v_mov_b32_e32 v2, s13
	global_wb scope:SCOPE_SYS
	s_wait_loadcnt 0x0
	s_wait_storecnt 0x0
	global_atomic_add_u64 v[6:7], v[2:3], off offset:8 scope:SCOPE_SYS
.LBB7_863:                              ;   in Loop: Header=BB7_800 Depth=1
	s_or_b32 exec_lo, exec_lo, s12
	s_wait_loadcnt 0x0
	global_load_b64 v[8:9], v[6:7], off offset:16
	s_wait_loadcnt 0x0
	v_cmp_eq_u64_e32 vcc_lo, 0, v[8:9]
	s_cbranch_vccnz .LBB7_865
; %bb.864:                              ;   in Loop: Header=BB7_800 Depth=1
	global_load_b32 v2, v[6:7], off offset:24
	s_wait_loadcnt 0x0
	v_readfirstlane_b32 s12, v2
	global_wb scope:SCOPE_SYS
	s_wait_storecnt 0x0
	global_store_b64 v[8:9], v[2:3], off scope:SCOPE_SYS
	s_and_b32 m0, s12, 0xffffff
	s_sendmsg sendmsg(MSG_INTERRUPT)
.LBB7_865:                              ;   in Loop: Header=BB7_800 Depth=1
	s_wait_alu 0xfffe
	s_or_b32 exec_lo, exec_lo, s1
	v_add_co_u32 v6, vcc_lo, v24, v30
	s_wait_alu 0xfffd
	v_add_co_ci_u32_e64 v7, null, 0, v25, vcc_lo
	s_branch .LBB7_869
.LBB7_866:                              ;   in Loop: Header=BB7_869 Depth=2
	s_wait_alu 0xfffe
	s_or_b32 exec_lo, exec_lo, s1
	s_delay_alu instid0(VALU_DEP_1)
	v_readfirstlane_b32 s1, v2
	s_cmp_eq_u32 s1, 0
	s_cbranch_scc1 .LBB7_868
; %bb.867:                              ;   in Loop: Header=BB7_869 Depth=2
	s_sleep 1
	s_cbranch_execnz .LBB7_869
	s_branch .LBB7_871
.LBB7_868:                              ;   in Loop: Header=BB7_800 Depth=1
	s_branch .LBB7_871
.LBB7_869:                              ;   Parent Loop BB7_800 Depth=1
                                        ; =>  This Inner Loop Header: Depth=2
	v_mov_b32_e32 v2, 1
	s_and_saveexec_b32 s1, s0
	s_cbranch_execz .LBB7_866
; %bb.870:                              ;   in Loop: Header=BB7_869 Depth=2
	global_load_b32 v2, v[26:27], off offset:20 scope:SCOPE_SYS
	s_wait_loadcnt 0x0
	global_inv scope:SCOPE_SYS
	v_and_b32_e32 v2, 1, v2
	s_branch .LBB7_866
.LBB7_871:                              ;   in Loop: Header=BB7_800 Depth=1
	global_load_b128 v[6:9], v[6:7], off
	s_and_saveexec_b32 s12, s0
	s_cbranch_execz .LBB7_799
; %bb.872:                              ;   in Loop: Header=BB7_800 Depth=1
	s_wait_loadcnt 0x0
	s_clause 0x2
	global_load_b64 v[8:9], v3, s[2:3] offset:40
	global_load_b64 v[16:17], v3, s[2:3] offset:24 scope:SCOPE_SYS
	global_load_b64 v[10:11], v3, s[2:3]
	s_wait_loadcnt 0x2
	v_readfirstlane_b32 s14, v8
	v_readfirstlane_b32 s15, v9
	s_add_nc_u64 s[0:1], s[14:15], 1
	s_wait_alu 0xfffe
	s_add_nc_u64 s[10:11], s[0:1], s[10:11]
	s_wait_alu 0xfffe
	s_cmp_eq_u64 s[10:11], 0
	s_cselect_b32 s1, s1, s11
	s_cselect_b32 s0, s0, s10
	s_wait_alu 0xfffe
	v_dual_mov_b32 v15, s1 :: v_dual_mov_b32 v14, s0
	s_and_b64 s[10:11], s[0:1], s[14:15]
	s_wait_alu 0xfffe
	s_mul_u64 s[10:11], s[10:11], 24
	s_wait_loadcnt 0x0
	s_wait_alu 0xfffe
	v_add_co_u32 v12, vcc_lo, v10, s10
	s_wait_alu 0xfffd
	v_add_co_ci_u32_e64 v13, null, s11, v11, vcc_lo
	global_store_b64 v[12:13], v[16:17], off
	global_wb scope:SCOPE_SYS
	s_wait_storecnt 0x0
	global_atomic_cmpswap_b64 v[10:11], v3, v[14:17], s[2:3] offset:24 th:TH_ATOMIC_RETURN scope:SCOPE_SYS
	s_wait_loadcnt 0x0
	v_cmp_ne_u64_e32 vcc_lo, v[10:11], v[16:17]
	s_and_b32 exec_lo, exec_lo, vcc_lo
	s_cbranch_execz .LBB7_799
; %bb.873:                              ;   in Loop: Header=BB7_800 Depth=1
	s_mov_b32 s10, 0
.LBB7_874:                              ;   Parent Loop BB7_800 Depth=1
                                        ; =>  This Inner Loop Header: Depth=2
	v_dual_mov_b32 v8, s0 :: v_dual_mov_b32 v9, s1
	s_sleep 1
	global_store_b64 v[12:13], v[10:11], off
	global_wb scope:SCOPE_SYS
	s_wait_storecnt 0x0
	global_atomic_cmpswap_b64 v[8:9], v3, v[8:11], s[2:3] offset:24 th:TH_ATOMIC_RETURN scope:SCOPE_SYS
	s_wait_loadcnt 0x0
	v_cmp_eq_u64_e32 vcc_lo, v[8:9], v[10:11]
	v_dual_mov_b32 v11, v9 :: v_dual_mov_b32 v10, v8
	s_wait_alu 0xfffe
	s_or_b32 s10, vcc_lo, s10
	s_wait_alu 0xfffe
	s_and_not1_b32 exec_lo, exec_lo, s10
	s_cbranch_execnz .LBB7_874
	s_branch .LBB7_799
.LBB7_875:
	s_branch .LBB7_904
.LBB7_876:
	s_cbranch_execz .LBB7_904
; %bb.877:
	v_readfirstlane_b32 s0, v31
	s_wait_loadcnt 0x0
	v_mov_b32_e32 v8, 0
	v_mov_b32_e32 v9, 0
	s_wait_alu 0xf1ff
	v_cmp_eq_u32_e64 s0, s0, v31
	s_and_saveexec_b32 s1, s0
	s_cbranch_execz .LBB7_883
; %bb.878:
	v_mov_b32_e32 v2, 0
	s_mov_b32 s4, exec_lo
	global_load_b64 v[5:6], v2, s[2:3] offset:24 scope:SCOPE_SYS
	s_wait_loadcnt 0x0
	global_inv scope:SCOPE_SYS
	s_clause 0x1
	global_load_b64 v[3:4], v2, s[2:3] offset:40
	global_load_b64 v[7:8], v2, s[2:3]
	s_wait_loadcnt 0x1
	v_and_b32_e32 v4, v4, v6
	v_and_b32_e32 v3, v3, v5
	s_delay_alu instid0(VALU_DEP_2) | instskip(NEXT) | instid1(VALU_DEP_2)
	v_mul_lo_u32 v4, 24, v4
	v_mul_lo_u32 v9, 0, v3
	v_mul_hi_u32 v10, 24, v3
	v_mul_lo_u32 v3, 24, v3
	s_delay_alu instid0(VALU_DEP_3) | instskip(SKIP_1) | instid1(VALU_DEP_2)
	v_add_nc_u32_e32 v4, v4, v9
	s_wait_loadcnt 0x0
	v_add_co_u32 v3, vcc_lo, v7, v3
	s_delay_alu instid0(VALU_DEP_2) | instskip(SKIP_1) | instid1(VALU_DEP_1)
	v_add_nc_u32_e32 v4, v4, v10
	s_wait_alu 0xfffd
	v_add_co_ci_u32_e64 v4, null, v8, v4, vcc_lo
	global_load_b64 v[3:4], v[3:4], off scope:SCOPE_SYS
	s_wait_loadcnt 0x0
	global_atomic_cmpswap_b64 v[8:9], v2, v[3:6], s[2:3] offset:24 th:TH_ATOMIC_RETURN scope:SCOPE_SYS
	s_wait_loadcnt 0x0
	global_inv scope:SCOPE_SYS
	v_cmpx_ne_u64_e64 v[8:9], v[5:6]
	s_cbranch_execz .LBB7_882
; %bb.879:
	s_mov_b32 s5, 0
.LBB7_880:                              ; =>This Inner Loop Header: Depth=1
	s_sleep 1
	s_clause 0x1
	global_load_b64 v[3:4], v2, s[2:3] offset:40
	global_load_b64 v[10:11], v2, s[2:3]
	v_dual_mov_b32 v5, v8 :: v_dual_mov_b32 v6, v9
	s_wait_loadcnt 0x1
	s_delay_alu instid0(VALU_DEP_1) | instskip(NEXT) | instid1(VALU_DEP_2)
	v_and_b32_e32 v3, v3, v5
	v_and_b32_e32 v4, v4, v6
	s_wait_loadcnt 0x0
	s_delay_alu instid0(VALU_DEP_2) | instskip(NEXT) | instid1(VALU_DEP_1)
	v_mad_co_u64_u32 v[7:8], null, v3, 24, v[10:11]
	v_mov_b32_e32 v3, v8
	s_delay_alu instid0(VALU_DEP_1) | instskip(NEXT) | instid1(VALU_DEP_1)
	v_mad_co_u64_u32 v[3:4], null, v4, 24, v[3:4]
	v_mov_b32_e32 v8, v3
	global_load_b64 v[3:4], v[7:8], off scope:SCOPE_SYS
	s_wait_loadcnt 0x0
	global_atomic_cmpswap_b64 v[8:9], v2, v[3:6], s[2:3] offset:24 th:TH_ATOMIC_RETURN scope:SCOPE_SYS
	s_wait_loadcnt 0x0
	global_inv scope:SCOPE_SYS
	v_cmp_eq_u64_e32 vcc_lo, v[8:9], v[5:6]
	s_wait_alu 0xfffe
	s_or_b32 s5, vcc_lo, s5
	s_wait_alu 0xfffe
	s_and_not1_b32 exec_lo, exec_lo, s5
	s_cbranch_execnz .LBB7_880
; %bb.881:
	s_or_b32 exec_lo, exec_lo, s5
.LBB7_882:
	s_wait_alu 0xfffe
	s_or_b32 exec_lo, exec_lo, s4
.LBB7_883:
	s_wait_alu 0xfffe
	s_or_b32 exec_lo, exec_lo, s1
	v_readfirstlane_b32 s5, v9
	v_mov_b32_e32 v2, 0
	v_readfirstlane_b32 s4, v8
	s_mov_b32 s1, exec_lo
	s_clause 0x1
	global_load_b64 v[10:11], v2, s[2:3] offset:40
	global_load_b128 v[4:7], v2, s[2:3]
	s_wait_loadcnt 0x1
	s_wait_alu 0xf1ff
	v_and_b32_e32 v11, s5, v11
	v_and_b32_e32 v10, s4, v10
	s_delay_alu instid0(VALU_DEP_2) | instskip(NEXT) | instid1(VALU_DEP_2)
	v_mul_lo_u32 v3, 24, v11
	v_mul_lo_u32 v8, 0, v10
	v_mul_hi_u32 v9, 24, v10
	v_mul_lo_u32 v12, 24, v10
	s_delay_alu instid0(VALU_DEP_3) | instskip(SKIP_1) | instid1(VALU_DEP_2)
	v_add_nc_u32_e32 v3, v3, v8
	s_wait_loadcnt 0x0
	v_add_co_u32 v8, vcc_lo, v4, v12
	s_delay_alu instid0(VALU_DEP_2) | instskip(SKIP_1) | instid1(VALU_DEP_1)
	v_add_nc_u32_e32 v3, v3, v9
	s_wait_alu 0xfffd
	v_add_co_ci_u32_e64 v9, null, v5, v3, vcc_lo
	s_and_saveexec_b32 s6, s0
	s_cbranch_execz .LBB7_885
; %bb.884:
	s_wait_alu 0xfffe
	v_dual_mov_b32 v12, s1 :: v_dual_mov_b32 v13, v2
	v_dual_mov_b32 v14, 2 :: v_dual_mov_b32 v15, 1
	global_store_b128 v[8:9], v[12:15], off offset:8
.LBB7_885:
	s_wait_alu 0xfffe
	s_or_b32 exec_lo, exec_lo, s6
	v_lshlrev_b64_e32 v[10:11], 12, v[10:11]
	s_mov_b32 s8, 0
	v_and_or_b32 v0, 0xffffff1d, v0, 34
	s_wait_alu 0xfffe
	s_mov_b32 s11, s8
	s_mov_b32 s9, s8
	;; [unrolled: 1-line block ×3, first 2 shown]
	v_add_co_u32 v6, vcc_lo, v6, v10
	s_wait_alu 0xfffd
	v_add_co_ci_u32_e64 v7, null, v7, v11, vcc_lo
	v_mov_b32_e32 v3, v2
	s_delay_alu instid0(VALU_DEP_3)
	v_readfirstlane_b32 s6, v6
	s_wait_alu 0xfffe
	v_dual_mov_b32 v13, s11 :: v_dual_mov_b32 v10, s8
	v_readfirstlane_b32 s7, v7
	v_dual_mov_b32 v12, s10 :: v_dual_mov_b32 v11, s9
	s_clause 0x3
	global_store_b128 v30, v[0:3], s[6:7]
	global_store_b128 v30, v[10:13], s[6:7] offset:16
	global_store_b128 v30, v[10:13], s[6:7] offset:32
	;; [unrolled: 1-line block ×3, first 2 shown]
	s_and_saveexec_b32 s1, s0
	s_cbranch_execz .LBB7_893
; %bb.886:
	v_mov_b32_e32 v6, 0
	s_mov_b32 s6, exec_lo
	s_clause 0x1
	global_load_b64 v[12:13], v6, s[2:3] offset:32 scope:SCOPE_SYS
	global_load_b64 v[0:1], v6, s[2:3] offset:40
	v_dual_mov_b32 v11, s5 :: v_dual_mov_b32 v10, s4
	s_wait_loadcnt 0x0
	v_and_b32_e32 v1, s5, v1
	v_and_b32_e32 v0, s4, v0
	s_delay_alu instid0(VALU_DEP_2) | instskip(NEXT) | instid1(VALU_DEP_2)
	v_mul_lo_u32 v1, 24, v1
	v_mul_lo_u32 v2, 0, v0
	v_mul_hi_u32 v3, 24, v0
	v_mul_lo_u32 v0, 24, v0
	s_delay_alu instid0(VALU_DEP_3) | instskip(NEXT) | instid1(VALU_DEP_2)
	v_add_nc_u32_e32 v1, v1, v2
	v_add_co_u32 v4, vcc_lo, v4, v0
	s_delay_alu instid0(VALU_DEP_2) | instskip(SKIP_1) | instid1(VALU_DEP_1)
	v_add_nc_u32_e32 v1, v1, v3
	s_wait_alu 0xfffd
	v_add_co_ci_u32_e64 v5, null, v5, v1, vcc_lo
	global_store_b64 v[4:5], v[12:13], off
	global_wb scope:SCOPE_SYS
	s_wait_storecnt 0x0
	global_atomic_cmpswap_b64 v[2:3], v6, v[10:13], s[2:3] offset:32 th:TH_ATOMIC_RETURN scope:SCOPE_SYS
	s_wait_loadcnt 0x0
	v_cmpx_ne_u64_e64 v[2:3], v[12:13]
	s_cbranch_execz .LBB7_889
; %bb.887:
	s_mov_b32 s7, 0
.LBB7_888:                              ; =>This Inner Loop Header: Depth=1
	v_dual_mov_b32 v0, s4 :: v_dual_mov_b32 v1, s5
	s_sleep 1
	global_store_b64 v[4:5], v[2:3], off
	global_wb scope:SCOPE_SYS
	s_wait_storecnt 0x0
	global_atomic_cmpswap_b64 v[0:1], v6, v[0:3], s[2:3] offset:32 th:TH_ATOMIC_RETURN scope:SCOPE_SYS
	s_wait_loadcnt 0x0
	v_cmp_eq_u64_e32 vcc_lo, v[0:1], v[2:3]
	v_dual_mov_b32 v3, v1 :: v_dual_mov_b32 v2, v0
	s_wait_alu 0xfffe
	s_or_b32 s7, vcc_lo, s7
	s_wait_alu 0xfffe
	s_and_not1_b32 exec_lo, exec_lo, s7
	s_cbranch_execnz .LBB7_888
.LBB7_889:
	s_wait_alu 0xfffe
	s_or_b32 exec_lo, exec_lo, s6
	v_mov_b32_e32 v3, 0
	s_mov_b32 s7, exec_lo
	s_mov_b32 s6, exec_lo
	s_wait_alu 0xfffe
	v_mbcnt_lo_u32_b32 v2, s7, 0
	global_load_b64 v[0:1], v3, s[2:3] offset:16
	v_cmpx_eq_u32_e32 0, v2
	s_cbranch_execz .LBB7_891
; %bb.890:
	s_bcnt1_i32_b32 s7, s7
	s_wait_alu 0xfffe
	v_mov_b32_e32 v2, s7
	global_wb scope:SCOPE_SYS
	s_wait_loadcnt 0x0
	s_wait_storecnt 0x0
	global_atomic_add_u64 v[0:1], v[2:3], off offset:8 scope:SCOPE_SYS
.LBB7_891:
	s_or_b32 exec_lo, exec_lo, s6
	s_wait_loadcnt 0x0
	global_load_b64 v[2:3], v[0:1], off offset:16
	s_wait_loadcnt 0x0
	v_cmp_eq_u64_e32 vcc_lo, 0, v[2:3]
	s_cbranch_vccnz .LBB7_893
; %bb.892:
	global_load_b32 v0, v[0:1], off offset:24
	v_mov_b32_e32 v1, 0
	s_wait_loadcnt 0x0
	v_readfirstlane_b32 s6, v0
	global_wb scope:SCOPE_SYS
	s_wait_storecnt 0x0
	global_store_b64 v[2:3], v[0:1], off scope:SCOPE_SYS
	s_and_b32 m0, s6, 0xffffff
	s_sendmsg sendmsg(MSG_INTERRUPT)
.LBB7_893:
	s_wait_alu 0xfffe
	s_or_b32 exec_lo, exec_lo, s1
	s_branch .LBB7_897
.LBB7_894:                              ;   in Loop: Header=BB7_897 Depth=1
	s_wait_alu 0xfffe
	s_or_b32 exec_lo, exec_lo, s1
	s_delay_alu instid0(VALU_DEP_1)
	v_readfirstlane_b32 s1, v0
	s_cmp_eq_u32 s1, 0
	s_cbranch_scc1 .LBB7_896
; %bb.895:                              ;   in Loop: Header=BB7_897 Depth=1
	s_sleep 1
	s_cbranch_execnz .LBB7_897
	s_branch .LBB7_899
.LBB7_896:
	s_branch .LBB7_899
.LBB7_897:                              ; =>This Inner Loop Header: Depth=1
	v_mov_b32_e32 v0, 1
	s_and_saveexec_b32 s1, s0
	s_cbranch_execz .LBB7_894
; %bb.898:                              ;   in Loop: Header=BB7_897 Depth=1
	global_load_b32 v0, v[8:9], off offset:20 scope:SCOPE_SYS
	s_wait_loadcnt 0x0
	global_inv scope:SCOPE_SYS
	v_and_b32_e32 v0, 1, v0
	s_branch .LBB7_894
.LBB7_899:
	s_and_saveexec_b32 s6, s0
	s_cbranch_execz .LBB7_903
; %bb.900:
	v_mov_b32_e32 v6, 0
	s_clause 0x2
	global_load_b64 v[0:1], v6, s[2:3] offset:40
	global_load_b64 v[9:10], v6, s[2:3] offset:24 scope:SCOPE_SYS
	global_load_b64 v[2:3], v6, s[2:3]
	s_wait_loadcnt 0x2
	v_readfirstlane_b32 s8, v0
	v_readfirstlane_b32 s9, v1
	s_add_nc_u64 s[0:1], s[8:9], 1
	s_wait_alu 0xfffe
	s_add_nc_u64 s[4:5], s[0:1], s[4:5]
	s_wait_alu 0xfffe
	s_cmp_eq_u64 s[4:5], 0
	s_cselect_b32 s1, s1, s5
	s_cselect_b32 s0, s0, s4
	s_wait_alu 0xfffe
	v_mov_b32_e32 v8, s1
	s_and_b64 s[4:5], s[0:1], s[8:9]
	v_mov_b32_e32 v7, s0
	s_wait_alu 0xfffe
	s_mul_u64 s[4:5], s[4:5], 24
	s_wait_loadcnt 0x0
	s_wait_alu 0xfffe
	v_add_co_u32 v4, vcc_lo, v2, s4
	s_wait_alu 0xfffd
	v_add_co_ci_u32_e64 v5, null, s5, v3, vcc_lo
	global_store_b64 v[4:5], v[9:10], off
	global_wb scope:SCOPE_SYS
	s_wait_storecnt 0x0
	global_atomic_cmpswap_b64 v[2:3], v6, v[7:10], s[2:3] offset:24 th:TH_ATOMIC_RETURN scope:SCOPE_SYS
	s_wait_loadcnt 0x0
	v_cmp_ne_u64_e32 vcc_lo, v[2:3], v[9:10]
	s_and_b32 exec_lo, exec_lo, vcc_lo
	s_cbranch_execz .LBB7_903
; %bb.901:
	s_mov_b32 s4, 0
.LBB7_902:                              ; =>This Inner Loop Header: Depth=1
	v_dual_mov_b32 v0, s0 :: v_dual_mov_b32 v1, s1
	s_sleep 1
	global_store_b64 v[4:5], v[2:3], off
	global_wb scope:SCOPE_SYS
	s_wait_storecnt 0x0
	global_atomic_cmpswap_b64 v[0:1], v6, v[0:3], s[2:3] offset:24 th:TH_ATOMIC_RETURN scope:SCOPE_SYS
	s_wait_loadcnt 0x0
	v_cmp_eq_u64_e32 vcc_lo, v[0:1], v[2:3]
	v_dual_mov_b32 v3, v1 :: v_dual_mov_b32 v2, v0
	s_wait_alu 0xfffe
	s_or_b32 s4, vcc_lo, s4
	s_wait_alu 0xfffe
	s_and_not1_b32 exec_lo, exec_lo, s4
	s_cbranch_execnz .LBB7_902
.LBB7_903:
	s_wait_alu 0xfffe
	s_or_b32 exec_lo, exec_lo, s6
.LBB7_904:
	s_getpc_b64 s[0:1]
	s_wait_alu 0xfffe
	s_sext_i32_i16 s1, s1
	s_add_co_u32 s0, s0, .str.29@rel32@lo+12
	s_wait_alu 0xfffe
	s_add_co_ci_u32 s1, s1, .str.29@rel32@hi+24
	s_getpc_b64 s[2:3]
	s_wait_alu 0xfffe
	s_sext_i32_i16 s3, s3
	s_add_co_u32 s2, s2, .str.19@rel32@lo+12
	s_wait_alu 0xfffe
	s_add_co_ci_u32 s3, s3, .str.19@rel32@hi+24
	s_getpc_b64 s[4:5]
	s_wait_alu 0xfffe
	s_sext_i32_i16 s5, s5
	s_add_co_u32 s4, s4, __PRETTY_FUNCTION__._ZN7VecsMemIjLi8192EE5fetchEi@rel32@lo+12
	s_wait_alu 0xfffe
	s_add_co_ci_u32 s5, s5, __PRETTY_FUNCTION__._ZN7VecsMemIjLi8192EE5fetchEi@rel32@hi+24
	s_wait_loadcnt 0x0
	v_dual_mov_b32 v0, s0 :: v_dual_mov_b32 v1, s1
	v_dual_mov_b32 v2, s2 :: v_dual_mov_b32 v3, s3
	;; [unrolled: 1-line block ×3, first 2 shown]
	s_wait_alu 0xfffe
	v_mov_b32_e32 v6, s5
	s_getpc_b64 s[6:7]
	s_wait_alu 0xfffe
	s_sext_i32_i16 s7, s7
	s_add_co_u32 s6, s6, __assert_fail@rel32@lo+12
	s_wait_alu 0xfffe
	s_add_co_ci_u32 s7, s7, __assert_fail@rel32@hi+24
	s_mov_b64 s[8:9], s[84:85]
	s_wait_alu 0xfffe
	s_swappc_b64 s[30:31], s[6:7]
	s_or_b32 s17, s17, exec_lo
	s_or_b32 exec_lo, exec_lo, s21
	s_and_saveexec_b32 s0, s19
	s_wait_alu 0xfffe
	s_xor_b32 s19, exec_lo, s0
	s_cbranch_execz .LBB7_350
.LBB7_905:
	s_getpc_b64 s[0:1]
	s_wait_alu 0xfffe
	s_sext_i32_i16 s1, s1
	s_add_co_u32 s0, s0, .str.18@rel32@lo+12
	s_wait_alu 0xfffe
	s_add_co_ci_u32 s1, s1, .str.18@rel32@hi+24
	s_getpc_b64 s[2:3]
	s_wait_alu 0xfffe
	s_sext_i32_i16 s3, s3
	s_add_co_u32 s2, s2, .str.19@rel32@lo+12
	s_wait_alu 0xfffe
	s_add_co_ci_u32 s3, s3, .str.19@rel32@hi+24
	s_getpc_b64 s[4:5]
	s_wait_alu 0xfffe
	s_sext_i32_i16 s5, s5
	s_add_co_u32 s4, s4, __PRETTY_FUNCTION__._ZN7VecsMemIjLi8192EE6shrinkEi@rel32@lo+12
	s_wait_alu 0xfffe
	s_add_co_ci_u32 s5, s5, __PRETTY_FUNCTION__._ZN7VecsMemIjLi8192EE6shrinkEi@rel32@hi+24
	v_dual_mov_b32 v0, s0 :: v_dual_mov_b32 v1, s1
	v_dual_mov_b32 v2, s2 :: v_dual_mov_b32 v3, s3
	;; [unrolled: 1-line block ×3, first 2 shown]
	s_wait_loadcnt 0x0
	s_wait_alu 0xfffe
	v_mov_b32_e32 v6, s5
	s_getpc_b64 s[6:7]
	s_wait_alu 0xfffe
	s_sext_i32_i16 s7, s7
	s_add_co_u32 s6, s6, __assert_fail@rel32@lo+12
	s_wait_alu 0xfffe
	s_add_co_ci_u32 s7, s7, __assert_fail@rel32@hi+24
	s_mov_b64 s[8:9], s[84:85]
	s_wait_alu 0xfffe
	s_swappc_b64 s[30:31], s[6:7]
	s_or_b32 s17, s17, exec_lo
	s_or_b32 exec_lo, exec_lo, s19
	s_and_saveexec_b32 s19, s18
	s_cbranch_execz .LBB7_351
.LBB7_906:
	s_getpc_b64 s[0:1]
	s_wait_alu 0xfffe
	s_sext_i32_i16 s1, s1
	s_add_co_u32 s0, s0, .str.7@rel32@lo+12
	s_wait_alu 0xfffe
	s_add_co_ci_u32 s1, s1, .str.7@rel32@hi+24
	s_getpc_b64 s[2:3]
	s_wait_alu 0xfffe
	s_sext_i32_i16 s3, s3
	s_add_co_u32 s2, s2, .str.1@rel32@lo+12
	s_wait_alu 0xfffe
	s_add_co_ci_u32 s3, s3, .str.1@rel32@hi+24
	s_getpc_b64 s[4:5]
	s_wait_alu 0xfffe
	s_sext_i32_i16 s5, s5
	s_add_co_u32 s4, s4, __PRETTY_FUNCTION__._Z8resynCutPKiS0_S0_S0_PKyPKjiS0_PyPiS6_S6_PjS0_S4_ii@rel32@lo+12
	s_wait_alu 0xfffe
	s_add_co_ci_u32 s5, s5, __PRETTY_FUNCTION__._Z8resynCutPKiS0_S0_S0_PKyPKjiS0_PyPiS6_S6_PjS0_S4_ii@rel32@hi+24
	v_dual_mov_b32 v0, s0 :: v_dual_mov_b32 v1, s1
	v_dual_mov_b32 v2, s2 :: v_dual_mov_b32 v3, s3
	;; [unrolled: 1-line block ×3, first 2 shown]
	s_wait_loadcnt 0x0
	s_wait_alu 0xfffe
	v_mov_b32_e32 v6, s5
	s_getpc_b64 s[6:7]
	s_wait_alu 0xfffe
	s_sext_i32_i16 s7, s7
	s_add_co_u32 s6, s6, __assert_fail@rel32@lo+12
	s_wait_alu 0xfffe
	s_add_co_ci_u32 s7, s7, __assert_fail@rel32@hi+24
	s_mov_b64 s[8:9], s[84:85]
	s_wait_alu 0xfffe
	s_swappc_b64 s[30:31], s[6:7]
	s_or_b32 s17, s17, exec_lo
	s_or_b32 exec_lo, exec_lo, s19
	s_wait_alu 0xfffe
	s_and_saveexec_b32 s0, s17
	s_cbranch_execz .LBB7_352
.LBB7_907:
	; divergent unreachable
	s_endpgm
	.section	.rodata,"a",@progbits
	.p2align	6, 0x0
	.amdhsa_kernel _Z8resynCutPKiS0_S0_S0_PKyPKjiS0_PyPiS6_S6_PjS0_S4_ii
		.amdhsa_group_segment_fixed_size 0
		.amdhsa_private_segment_fixed_size 41392
		.amdhsa_kernarg_size 384
		.amdhsa_user_sgpr_count 2
		.amdhsa_user_sgpr_dispatch_ptr 0
		.amdhsa_user_sgpr_queue_ptr 0
		.amdhsa_user_sgpr_kernarg_segment_ptr 1
		.amdhsa_user_sgpr_dispatch_id 0
		.amdhsa_user_sgpr_private_segment_size 0
		.amdhsa_wavefront_size32 1
		.amdhsa_uses_dynamic_stack 1
		.amdhsa_enable_private_segment 1
		.amdhsa_system_sgpr_workgroup_id_x 1
		.amdhsa_system_sgpr_workgroup_id_y 0
		.amdhsa_system_sgpr_workgroup_id_z 0
		.amdhsa_system_sgpr_workgroup_info 0
		.amdhsa_system_vgpr_workitem_id 0
		.amdhsa_next_free_vgpr 95
		.amdhsa_next_free_sgpr 105
		.amdhsa_reserve_vcc 1
		.amdhsa_float_round_mode_32 0
		.amdhsa_float_round_mode_16_64 0
		.amdhsa_float_denorm_mode_32 3
		.amdhsa_float_denorm_mode_16_64 3
		.amdhsa_fp16_overflow 0
		.amdhsa_workgroup_processor_mode 1
		.amdhsa_memory_ordered 1
		.amdhsa_forward_progress 1
		.amdhsa_inst_pref_size 255
		.amdhsa_round_robin_scheduling 0
		.amdhsa_exception_fp_ieee_invalid_op 0
		.amdhsa_exception_fp_denorm_src 0
		.amdhsa_exception_fp_ieee_div_zero 0
		.amdhsa_exception_fp_ieee_overflow 0
		.amdhsa_exception_fp_ieee_underflow 0
		.amdhsa_exception_fp_ieee_inexact 0
		.amdhsa_exception_int_div_zero 0
	.end_amdhsa_kernel
	.text
.Lfunc_end7:
	.size	_Z8resynCutPKiS0_S0_S0_PKyPKjiS0_PyPiS6_S6_PjS0_S4_ii, .Lfunc_end7-_Z8resynCutPKiS0_S0_S0_PKyPKjiS0_PyPiS6_S6_PjS0_S4_ii
                                        ; -- End function
	.set _Z8resynCutPKiS0_S0_S0_PKyPKjiS0_PyPiS6_S6_PjS0_S4_ii.num_vgpr, max(95, .L_ZN3sop13minatoIsopRecEPKjS1_iPNS_3SopEP7VecsMemIjLi8192EE.num_vgpr, .L_ZN3sop12sopFactorRecEPNS_3SopEiP7VecsMemIjLi8192EEPN8subgUtil4SubgILi256EEE.num_vgpr, .L__assert_fail.num_vgpr)
	.set _Z8resynCutPKiS0_S0_S0_PKyPKjiS0_PyPiS6_S6_PjS0_S4_ii.num_agpr, max(0, .L_ZN3sop13minatoIsopRecEPKjS1_iPNS_3SopEP7VecsMemIjLi8192EE.num_agpr, .L_ZN3sop12sopFactorRecEPNS_3SopEiP7VecsMemIjLi8192EEPN8subgUtil4SubgILi256EEE.num_agpr, .L__assert_fail.num_agpr)
	.set _Z8resynCutPKiS0_S0_S0_PKyPKjiS0_PyPiS6_S6_PjS0_S4_ii.numbered_sgpr, max(105, .L_ZN3sop13minatoIsopRecEPKjS1_iPNS_3SopEP7VecsMemIjLi8192EE.numbered_sgpr, .L_ZN3sop12sopFactorRecEPNS_3SopEiP7VecsMemIjLi8192EEPN8subgUtil4SubgILi256EEE.numbered_sgpr, .L__assert_fail.numbered_sgpr)
	.set _Z8resynCutPKiS0_S0_S0_PKyPKjiS0_PyPiS6_S6_PjS0_S4_ii.num_named_barrier, max(0, .L_ZN3sop13minatoIsopRecEPKjS1_iPNS_3SopEP7VecsMemIjLi8192EE.num_named_barrier, .L_ZN3sop12sopFactorRecEPNS_3SopEiP7VecsMemIjLi8192EEPN8subgUtil4SubgILi256EEE.num_named_barrier, .L__assert_fail.num_named_barrier)
	.set _Z8resynCutPKiS0_S0_S0_PKyPKjiS0_PyPiS6_S6_PjS0_S4_ii.private_seg_size, 41056+max(.L_ZN3sop13minatoIsopRecEPKjS1_iPNS_3SopEP7VecsMemIjLi8192EE.private_seg_size, .L_ZN3sop12sopFactorRecEPNS_3SopEiP7VecsMemIjLi8192EEPN8subgUtil4SubgILi256EEE.private_seg_size, .L__assert_fail.private_seg_size)
	.set _Z8resynCutPKiS0_S0_S0_PKyPKjiS0_PyPiS6_S6_PjS0_S4_ii.uses_vcc, or(1, .L_ZN3sop13minatoIsopRecEPKjS1_iPNS_3SopEP7VecsMemIjLi8192EE.uses_vcc, .L_ZN3sop12sopFactorRecEPNS_3SopEiP7VecsMemIjLi8192EEPN8subgUtil4SubgILi256EEE.uses_vcc, .L__assert_fail.uses_vcc)
	.set _Z8resynCutPKiS0_S0_S0_PKyPKjiS0_PyPiS6_S6_PjS0_S4_ii.uses_flat_scratch, or(1, .L_ZN3sop13minatoIsopRecEPKjS1_iPNS_3SopEP7VecsMemIjLi8192EE.uses_flat_scratch, .L_ZN3sop12sopFactorRecEPNS_3SopEiP7VecsMemIjLi8192EEPN8subgUtil4SubgILi256EEE.uses_flat_scratch, .L__assert_fail.uses_flat_scratch)
	.set _Z8resynCutPKiS0_S0_S0_PKyPKjiS0_PyPiS6_S6_PjS0_S4_ii.has_dyn_sized_stack, or(0, .L_ZN3sop13minatoIsopRecEPKjS1_iPNS_3SopEP7VecsMemIjLi8192EE.has_dyn_sized_stack, .L_ZN3sop12sopFactorRecEPNS_3SopEiP7VecsMemIjLi8192EEPN8subgUtil4SubgILi256EEE.has_dyn_sized_stack, .L__assert_fail.has_dyn_sized_stack)
	.set _Z8resynCutPKiS0_S0_S0_PKyPKjiS0_PyPiS6_S6_PjS0_S4_ii.has_recursion, or(1, .L_ZN3sop13minatoIsopRecEPKjS1_iPNS_3SopEP7VecsMemIjLi8192EE.has_recursion, .L_ZN3sop12sopFactorRecEPNS_3SopEiP7VecsMemIjLi8192EEPN8subgUtil4SubgILi256EEE.has_recursion, .L__assert_fail.has_recursion)
	.set _Z8resynCutPKiS0_S0_S0_PKyPKjiS0_PyPiS6_S6_PjS0_S4_ii.has_indirect_call, or(0, .L_ZN3sop13minatoIsopRecEPKjS1_iPNS_3SopEP7VecsMemIjLi8192EE.has_indirect_call, .L_ZN3sop12sopFactorRecEPNS_3SopEiP7VecsMemIjLi8192EEPN8subgUtil4SubgILi256EEE.has_indirect_call, .L__assert_fail.has_indirect_call)
	.section	.AMDGPU.csdata,"",@progbits
; Kernel info:
; codeLenInByte = 52788
; TotalNumSgprs: 107
; NumVgprs: 95
; ScratchSize: 41392
; MemoryBound: 0
; FloatMode: 240
; IeeeMode: 1
; LDSByteSize: 0 bytes/workgroup (compile time only)
; SGPRBlocks: 0
; VGPRBlocks: 11
; NumSGPRsForWavesPerEU: 107
; NumVGPRsForWavesPerEU: 95
; Occupancy: 16
; WaveLimiterHint : 1
; COMPUTE_PGM_RSRC2:SCRATCH_EN: 1
; COMPUTE_PGM_RSRC2:USER_SGPR: 2
; COMPUTE_PGM_RSRC2:TRAP_HANDLER: 0
; COMPUTE_PGM_RSRC2:TGID_X_EN: 1
; COMPUTE_PGM_RSRC2:TGID_Y_EN: 0
; COMPUTE_PGM_RSRC2:TGID_Z_EN: 0
; COMPUTE_PGM_RSRC2:TIDIG_COMP_CNT: 0
	.text
	.protected	_Z15factorFromTruthPKiS0_PyPiS2_S2_PKjS4_S0_S4_i ; -- Begin function _Z15factorFromTruthPKiS0_PyPiS2_S2_PKjS4_S0_S4_i
	.globl	_Z15factorFromTruthPKiS0_PyPiS2_S2_PKjS4_S0_S4_i
	.p2align	8
	.type	_Z15factorFromTruthPKiS0_PyPiS2_S2_PKjS4_S0_S4_i,@function
_Z15factorFromTruthPKiS0_PyPiS2_S2_PKjS4_S0_S4_i: ; @_Z15factorFromTruthPKiS0_PyPiS2_S2_PKjS4_S0_S4_i
; %bb.0:
	s_clause 0x1
	s_load_b32 s2, s[0:1], 0x64
	s_load_b32 s101, s[0:1], 0x50
	v_mov_b32_e32 v60, 0
	s_mov_b32 s3, -1
	s_add_nc_u64 s[86:87], s[0:1], 0x58
	s_mov_b32 s20, 0
	s_mov_b32 s18, 0
	;; [unrolled: 1-line block ×3, first 2 shown]
	s_mov_b32 s97, exec_lo
	s_mov_b32 s32, 0x8830
	scratch_store_b32 off, v60, off offset:32792
	s_wait_kmcnt 0x0
	s_and_b32 s2, s2, 0xffff
	s_lshl_b32 s4, s101, 1
	v_mad_co_u64_u32 v[0:1], null, ttmp9, s2, v[0:1]
	s_mov_b32 s2, 0
	v_cmpx_gt_i32_e64 s4, v0
	s_cbranch_execz .LBB8_406
; %bb.1:
	s_load_b512 s[36:51], s[0:1], 0x0
	v_cmp_le_i32_e64 s83, s101, v0
	v_mov_b32_e32 v1, 0
	v_cmp_gt_i32_e64 s104, s101, v0
	v_mov_b32_e32 v2, 0
	s_delay_alu instid0(VALU_DEP_4) | instskip(NEXT) | instid1(VALU_DEP_1)
	v_cndmask_b32_e64 v3, 0, s101, s83
	v_sub_nc_u32_e32 v62, v0, v3
	v_cmp_ne_u32_e32 vcc_lo, v0, v3
	s_and_saveexec_b32 s3, vcc_lo
	s_cbranch_execz .LBB8_3
; %bb.2:
	s_delay_alu instid0(VALU_DEP_2) | instskip(NEXT) | instid1(VALU_DEP_1)
	v_ashrrev_i32_e32 v63, 31, v62
	v_lshlrev_b64_e32 v[0:1], 2, v[62:63]
	s_wait_kmcnt 0x0
	s_delay_alu instid0(VALU_DEP_1) | instskip(SKIP_1) | instid1(VALU_DEP_2)
	v_add_co_u32 v0, s2, s38, v0
	s_wait_alu 0xf1ff
	v_add_co_ci_u32_e64 v1, null, s39, v1, s2
	global_load_b32 v60, v[0:1], off offset:-4
	v_dual_mov_b32 v1, v62 :: v_dual_mov_b32 v2, v63
.LBB8_3:
	s_wait_alu 0xfffe
	s_or_b32 exec_lo, exec_lo, s3
	s_delay_alu instid0(VALU_DEP_1) | instskip(SKIP_3) | instid1(VALU_DEP_2)
	v_lshlrev_b64_e32 v[1:2], 2, v[1:2]
	s_load_b64 s[0:1], s[0:1], 0x40
	v_mov_b32_e32 v0, 0
	s_wait_kmcnt 0x0
	v_add_co_u32 v3, s2, s38, v1
	s_wait_alu 0xf1ff
	v_add_co_ci_u32_e64 v4, null, s39, v2, s2
	global_load_b32 v43, v[3:4], off
	s_and_saveexec_b32 s2, vcc_lo
	s_cbranch_execz .LBB8_5
; %bb.4:
	v_add_co_u32 v3, vcc_lo, s0, v1
	s_delay_alu instid0(VALU_DEP_1)
	v_add_co_ci_u32_e64 v4, null, s1, v2, vcc_lo
	global_load_b32 v0, v[3:4], off offset:-4
.LBB8_5:
	s_wait_alu 0xfffe
	s_or_b32 exec_lo, exec_lo, s2
	v_add_co_u32 v1, vcc_lo, s0, v1
	s_wait_alu 0xfffd
	v_add_co_ci_u32_e64 v2, null, s1, v2, vcc_lo
	s_wait_loadcnt 0x0
	v_sub_nc_u32_e32 v41, v43, v60
	s_mov_b32 s19, 0
	s_mov_b32 s98, 0
	global_load_b32 v1, v[1:2], off
	s_mov_b32 s0, exec_lo
	v_add_nc_u32_e32 v2, -5, v41
	v_cmp_lt_i32_e32 vcc_lo, 5, v41
	s_delay_alu instid0(VALU_DEP_2) | instskip(SKIP_3) | instid1(VALU_DEP_2)
	v_lshlrev_b32_e64 v2, v2, 1
	s_wait_loadcnt 0x0
	v_sub_nc_u32_e32 v72, v1, v0
	s_wait_alu 0xfffd
	v_cndmask_b32_e32 v1, 1, v2, vcc_lo
	s_delay_alu instid0(VALU_DEP_1)
	v_cmpx_ne_u32_e64 v72, v1
	s_wait_alu 0xfffe
	s_xor_b32 s17, exec_lo, s0
	s_cbranch_execz .LBB8_7
; %bb.6:
	s_getpc_b64 s[0:1]
	s_wait_alu 0xfffe
	s_sext_i32_i16 s1, s1
	s_add_co_u32 s0, s0, .str.12@rel32@lo+12
	s_wait_alu 0xfffe
	s_add_co_ci_u32 s1, s1, .str.12@rel32@hi+24
	s_getpc_b64 s[2:3]
	s_wait_alu 0xfffe
	s_sext_i32_i16 s3, s3
	s_add_co_u32 s2, s2, .str.1@rel32@lo+12
	s_wait_alu 0xfffe
	s_add_co_ci_u32 s3, s3, .str.1@rel32@hi+24
	s_getpc_b64 s[4:5]
	s_wait_alu 0xfffe
	s_sext_i32_i16 s5, s5
	s_add_co_u32 s4, s4, __PRETTY_FUNCTION__._Z15factorFromTruthPKiS0_PyPiS2_S2_PKjS4_S0_S4_i@rel32@lo+12
	s_wait_alu 0xfffe
	s_add_co_ci_u32 s5, s5, __PRETTY_FUNCTION__._Z15factorFromTruthPKiS0_PyPiS2_S2_PKjS4_S0_S4_i@rel32@hi+24
	v_dual_mov_b32 v0, s0 :: v_dual_mov_b32 v1, s1
	v_dual_mov_b32 v2, s2 :: v_dual_mov_b32 v3, s3
	;; [unrolled: 1-line block ×3, first 2 shown]
	s_wait_alu 0xfffe
	v_mov_b32_e32 v6, s5
	s_getpc_b64 s[6:7]
	s_sext_i32_i16 s7, s7
	s_add_co_u32 s6, s6, __assert_fail@rel32@lo+8
	s_add_co_ci_u32 s7, s7, __assert_fail@rel32@hi+16
	s_mov_b64 s[8:9], s[86:87]
	s_swappc_b64 s[30:31], s[6:7]
	s_mov_b32 s98, exec_lo
                                        ; implicit-def: $vgpr72
                                        ; implicit-def: $vgpr41
                                        ; implicit-def: $vgpr0
                                        ; implicit-def: $vgpr62
                                        ; implicit-def: $vgpr60
                                        ; implicit-def: $vgpr43
.LBB8_7:
	s_or_saveexec_b32 s99, s17
	s_mov_b32 s1, 0
	s_mov_b32 s3, 0
	;; [unrolled: 1-line block ×3, first 2 shown]
	s_wait_alu 0xfffe
	s_xor_b32 exec_lo, exec_lo, s99
	s_cbranch_execz .LBB8_405
; %bb.8:
	v_dual_mov_b32 v2, s50 :: v_dual_mov_b32 v3, s51
                                        ; implicit-def: $vgpr45 : SGPR spill to VGPR lane
	v_ashrrev_i32_e32 v1, 31, v0
	s_mov_b64 s[84:85], src_private_base
	s_wait_alu 0xfffe
	v_dual_mov_b32 v5, 0 :: v_dual_mov_b32 v6, s85
	v_cndmask_b32_e64 v2, s48, v2, s83
	v_writelane_b32 v45, s36, 0
	v_lshlrev_b64_e32 v[0:1], 2, v[0:1]
	v_cndmask_b32_e64 v3, s49, v3, s83
	v_dual_mov_b32 v7, 16 :: v_dual_mov_b32 v8, s85
	v_writelane_b32 v45, s37, 1
	s_getpc_b64 s[0:1]
	s_wait_alu 0xfffe
	s_sext_i32_i16 s1, s1
	s_add_co_u32 s0, s0, _ZN3sop13minatoIsopRecEPKjS1_iPNS_3SopEP7VecsMemIjLi8192EE@rel32@lo+12
	s_wait_alu 0xfffe
	s_add_co_ci_u32 s1, s1, _ZN3sop13minatoIsopRecEPKjS1_iPNS_3SopEP7VecsMemIjLi8192EE@rel32@hi+24
	v_add_co_u32 v40, vcc_lo, v2, v0
	s_wait_alu 0xfffd
	v_add_co_ci_u32_e64 v42, null, v3, v1, vcc_lo
	v_writelane_b32 v45, s38, 2
	s_delay_alu instid0(VALU_DEP_3) | instskip(NEXT) | instid1(VALU_DEP_3)
	v_dual_mov_b32 v73, 0 :: v_dual_mov_b32 v0, v40
	v_dual_mov_b32 v1, v42 :: v_dual_mov_b32 v2, v40
	v_writelane_b32 v45, s39, 3
	v_dual_mov_b32 v3, v42 :: v_dual_mov_b32 v4, v41
	s_mov_b64 s[8:9], s[86:87]
	scratch_store_b32 off, v73, off offset:16
	v_writelane_b32 v45, s40, 4
	v_writelane_b32 v45, s41, 5
	v_writelane_b32 v45, s42, 6
	v_writelane_b32 v45, s43, 7
	v_writelane_b32 v45, s44, 8
	v_writelane_b32 v45, s45, 9
	v_writelane_b32 v45, s46, 10
	v_writelane_b32 v45, s47, 11
	v_writelane_b32 v45, s48, 12
	v_writelane_b32 v45, s49, 13
	v_writelane_b32 v45, s50, 14
	v_writelane_b32 v45, s51, 15
	s_wait_alu 0xfffe
	s_swappc_b64 s[30:31], s[0:1]
	s_mov_b32 s1, 0
                                        ; implicit-def: $sgpr0
                                        ; implicit-def: $sgpr3
                                        ; implicit-def: $sgpr2
	s_branch .LBB8_10
.LBB8_9:                                ;   in Loop: Header=BB8_10 Depth=1
	s_wait_alu 0xfffe
	s_or_b32 exec_lo, exec_lo, s4
	s_xor_b32 s4, s2, -1
	s_and_b32 s5, exec_lo, s3
	s_wait_alu 0xfffe
	s_or_b32 s1, s5, s1
	s_and_not1_b32 s0, s0, exec_lo
	s_and_b32 s4, s4, exec_lo
	s_wait_alu 0xfffe
	s_or_b32 s0, s0, s4
	s_and_not1_b32 exec_lo, exec_lo, s1
	s_cbranch_execz .LBB8_12
.LBB8_10:                               ; =>This Inner Loop Header: Depth=1
	s_or_b32 s2, s2, exec_lo
	s_or_b32 s3, s3, exec_lo
	s_mov_b32 s4, exec_lo
	v_cmpx_lt_i32_e32 0, v72
	s_cbranch_execz .LBB8_9
; %bb.11:                               ;   in Loop: Header=BB8_10 Depth=1
	v_add_nc_u32_e32 v72, -1, v72
	s_wait_alu 0xfffe
	s_and_not1_b32 s3, s3, exec_lo
	s_and_not1_b32 s2, s2, exec_lo
	s_delay_alu instid0(VALU_DEP_1) | instskip(NEXT) | instid1(VALU_DEP_1)
	v_lshlrev_b64_e32 v[2:3], 2, v[72:73]
	v_add_co_u32 v4, vcc_lo, v40, v2
	s_wait_alu 0xfffd
	s_delay_alu instid0(VALU_DEP_2)
	v_add_co_ci_u32_e64 v5, null, v42, v3, vcc_lo
	v_add_co_u32 v2, vcc_lo, v0, v2
	s_wait_alu 0xfffd
	v_add_co_ci_u32_e64 v3, null, v1, v3, vcc_lo
	global_load_b32 v4, v[4:5], off
	flat_load_b32 v2, v[2:3]
	s_wait_loadcnt_dscnt 0x0
	v_cmp_ne_u32_e32 vcc_lo, v4, v2
	s_and_b32 s5, vcc_lo, exec_lo
	s_wait_alu 0xfffe
	s_or_b32 s3, s3, s5
	s_branch .LBB8_9
.LBB8_12:
	s_or_b32 exec_lo, exec_lo, s1
	s_mov_b32 s29, s98
	s_wait_alu 0xfffe
	s_and_saveexec_b32 s1, s0
	s_wait_alu 0xfffe
	s_xor_b32 s17, exec_lo, s1
	s_cbranch_execz .LBB8_14
; %bb.13:
	s_getpc_b64 s[0:1]
	s_wait_alu 0xfffe
	s_sext_i32_i16 s1, s1
	s_add_co_u32 s0, s0, .str.15@rel32@lo+12
	s_wait_alu 0xfffe
	s_add_co_ci_u32 s1, s1, .str.15@rel32@hi+24
	s_getpc_b64 s[2:3]
	s_wait_alu 0xfffe
	s_sext_i32_i16 s3, s3
	s_add_co_u32 s2, s2, .str.16@rel32@lo+12
	s_wait_alu 0xfffe
	s_add_co_ci_u32 s3, s3, .str.16@rel32@hi+24
	s_getpc_b64 s[4:5]
	s_wait_alu 0xfffe
	s_sext_i32_i16 s5, s5
	s_add_co_u32 s4, s4, __PRETTY_FUNCTION__._ZN3sop10minatoIsopEPKjiP7VecsMemIjLi8192EE@rel32@lo+12
	s_wait_alu 0xfffe
	s_add_co_ci_u32 s5, s5, __PRETTY_FUNCTION__._ZN3sop10minatoIsopEPKjiP7VecsMemIjLi8192EE@rel32@hi+24
	v_dual_mov_b32 v0, s0 :: v_dual_mov_b32 v1, s1
	v_dual_mov_b32 v2, s2 :: v_dual_mov_b32 v3, s3
	;; [unrolled: 1-line block ×3, first 2 shown]
	s_wait_alu 0xfffe
	v_mov_b32_e32 v6, s5
	s_getpc_b64 s[6:7]
	s_wait_alu 0xfffe
	s_sext_i32_i16 s7, s7
	s_add_co_u32 s6, s6, __assert_fail@rel32@lo+12
	s_wait_alu 0xfffe
	s_add_co_ci_u32 s7, s7, __assert_fail@rel32@hi+24
	s_mov_b64 s[8:9], s[86:87]
	s_wait_alu 0xfffe
	s_swappc_b64 s[30:31], s[6:7]
	s_or_b32 s29, s98, exec_lo
                                        ; implicit-def: $vgpr62
                                        ; implicit-def: $vgpr41
                                        ; implicit-def: $vgpr60
                                        ; implicit-def: $vgpr43
.LBB8_14:
	s_wait_alu 0xfffe
	s_or_saveexec_b32 s103, s17
	v_readlane_b32 s36, v45, 0
	v_readlane_b32 s40, v45, 4
	;; [unrolled: 1-line block ×9, first 2 shown]
	s_mov_b32 s0, 0
	s_mov_b32 s2, 0
	;; [unrolled: 1-line block ×4, first 2 shown]
	v_readlane_b32 s37, v45, 1
	v_readlane_b32 s38, v45, 2
	;; [unrolled: 1-line block ×7, first 2 shown]
	s_wait_alu 0xfffe
	s_xor_b32 exec_lo, exec_lo, s103
	s_cbranch_execz .LBB8_404
; %bb.15:
	scratch_load_b32 v42, off, off offset:4
	s_mov_b32 s1, 0
	s_mov_b32 s17, 0
	s_mov_b32 s0, exec_lo
	s_wait_loadcnt 0x0
	v_cmpx_lt_i32_e32 0, v42
	s_wait_alu 0xfffe
	s_xor_b32 s2, exec_lo, s0
	s_cbranch_execz .LBB8_19
; %bb.16:
	s_mov_b32 s0, -1
	s_mov_b32 s3, exec_lo
	v_cmpx_eq_u32_e32 1, v42
	s_cbranch_execz .LBB8_18
; %bb.17:
	scratch_load_b64 v[0:1], off, off offset:8
	s_wait_loadcnt 0x0
	flat_load_b32 v0, v[0:1]
	s_wait_loadcnt_dscnt 0x0
	v_cmp_eq_u32_e32 vcc_lo, 0, v0
	v_cmp_ne_u32_e64 s0, 0, v0
	s_and_b32 s1, vcc_lo, exec_lo
	s_wait_alu 0xfffe
	s_or_not1_b32 s0, s0, exec_lo
.LBB8_18:
	s_wait_alu 0xfffe
	s_or_b32 exec_lo, exec_lo, s3
	s_delay_alu instid0(SALU_CYCLE_1)
	s_and_b32 s17, s1, exec_lo
	s_and_b32 s1, s0, exec_lo
.LBB8_19:
	s_wait_alu 0xfffe
	s_and_not1_saveexec_b32 s0, s2
; %bb.20:
	v_cmp_ne_u32_e32 vcc_lo, 0, v42
	s_and_not1_b32 s1, s1, exec_lo
	s_or_b32 s17, s17, exec_lo
	s_and_b32 s2, vcc_lo, exec_lo
	s_wait_alu 0xfffe
	s_or_b32 s1, s1, s2
; %bb.21:
	s_or_b32 exec_lo, exec_lo, s0
	s_mov_b32 s26, 0
	s_mov_b32 s0, 0
	;; [unrolled: 1-line block ×3, first 2 shown]
	s_wait_alu 0xfffe
	s_and_saveexec_b32 s18, s1
	s_cbranch_execz .LBB8_176
; %bb.22:
	v_mov_b32_e32 v44, -1
	s_mov_b32 s19, 0
	s_mov_b32 s0, -1
	s_mov_b32 s22, s29
	s_mov_b32 s20, exec_lo
	v_cmpx_lt_i32_e32 0, v42
	s_cbranch_execz .LBB8_162
; %bb.23:
	scratch_load_b32 v1, off, off offset:16
	v_mov_b32_e32 v44, -1
	s_mov_b32 s21, 0
	s_mov_b32 s0, exec_lo
	s_wait_loadcnt 0x0
	v_add_nc_u32_e32 v0, v1, v42
	s_delay_alu instid0(VALU_DEP_1)
	v_cmpx_gt_i32_e32 0x2001, v0
	s_wait_alu 0xfffe
	s_xor_b32 s0, exec_lo, s0
	s_cbranch_execz .LBB8_25
; %bb.24:
	v_lshlrev_b32_e32 v1, 2, v1
	s_mov_b32 s21, exec_lo
	scratch_store_b32 off, v0, off offset:16
	v_add3_u32 v44, 16, v1, 4
.LBB8_25:
	s_wait_alu 0xfffe
	s_or_saveexec_b32 s22, s0
	s_mov_b32 s0, s29
	s_wait_alu 0xfffe
	s_xor_b32 exec_lo, exec_lo, s22
	s_cbranch_execz .LBB8_161
; %bb.26:
	s_load_b64 s[2:3], s[86:87], 0x50
	v_mbcnt_lo_u32_b32 v31, -1, 0
	v_mov_b32_e32 v6, 0
	v_mov_b32_e32 v7, 0
	s_delay_alu instid0(VALU_DEP_3) | instskip(SKIP_1) | instid1(VALU_DEP_1)
	v_readfirstlane_b32 s0, v31
	s_wait_alu 0xf1ff
	v_cmp_eq_u32_e64 s0, s0, v31
	s_and_saveexec_b32 s1, s0
	s_cbranch_execz .LBB8_32
; %bb.27:
	v_mov_b32_e32 v0, 0
	s_mov_b32 s4, exec_lo
	s_wait_kmcnt 0x0
	global_load_b64 v[3:4], v0, s[2:3] offset:24 scope:SCOPE_SYS
	s_wait_loadcnt 0x0
	global_inv scope:SCOPE_SYS
	s_clause 0x1
	global_load_b64 v[1:2], v0, s[2:3] offset:40
	global_load_b64 v[5:6], v0, s[2:3]
	s_wait_loadcnt 0x1
	v_and_b32_e32 v2, v2, v4
	v_and_b32_e32 v1, v1, v3
	s_delay_alu instid0(VALU_DEP_2) | instskip(NEXT) | instid1(VALU_DEP_2)
	v_mul_lo_u32 v2, 24, v2
	v_mul_lo_u32 v7, 0, v1
	v_mul_hi_u32 v8, 24, v1
	v_mul_lo_u32 v1, 24, v1
	s_delay_alu instid0(VALU_DEP_3) | instskip(SKIP_1) | instid1(VALU_DEP_2)
	v_add_nc_u32_e32 v2, v2, v7
	s_wait_loadcnt 0x0
	v_add_co_u32 v1, vcc_lo, v5, v1
	s_delay_alu instid0(VALU_DEP_2) | instskip(SKIP_1) | instid1(VALU_DEP_1)
	v_add_nc_u32_e32 v2, v2, v8
	s_wait_alu 0xfffd
	v_add_co_ci_u32_e64 v2, null, v6, v2, vcc_lo
	global_load_b64 v[1:2], v[1:2], off scope:SCOPE_SYS
	s_wait_loadcnt 0x0
	global_atomic_cmpswap_b64 v[6:7], v0, v[1:4], s[2:3] offset:24 th:TH_ATOMIC_RETURN scope:SCOPE_SYS
	s_wait_loadcnt 0x0
	global_inv scope:SCOPE_SYS
	v_cmpx_ne_u64_e64 v[6:7], v[3:4]
	s_cbranch_execz .LBB8_31
; %bb.28:
	s_mov_b32 s5, 0
.LBB8_29:                               ; =>This Inner Loop Header: Depth=1
	s_sleep 1
	s_clause 0x1
	global_load_b64 v[1:2], v0, s[2:3] offset:40
	global_load_b64 v[8:9], v0, s[2:3]
	v_dual_mov_b32 v3, v6 :: v_dual_mov_b32 v4, v7
	s_wait_loadcnt 0x1
	s_delay_alu instid0(VALU_DEP_1) | instskip(NEXT) | instid1(VALU_DEP_2)
	v_and_b32_e32 v1, v1, v3
	v_and_b32_e32 v2, v2, v4
	s_wait_loadcnt 0x0
	s_delay_alu instid0(VALU_DEP_2) | instskip(NEXT) | instid1(VALU_DEP_1)
	v_mad_co_u64_u32 v[5:6], null, v1, 24, v[8:9]
	v_mov_b32_e32 v1, v6
	s_delay_alu instid0(VALU_DEP_1) | instskip(NEXT) | instid1(VALU_DEP_1)
	v_mad_co_u64_u32 v[1:2], null, v2, 24, v[1:2]
	v_mov_b32_e32 v6, v1
	global_load_b64 v[1:2], v[5:6], off scope:SCOPE_SYS
	s_wait_loadcnt 0x0
	global_atomic_cmpswap_b64 v[6:7], v0, v[1:4], s[2:3] offset:24 th:TH_ATOMIC_RETURN scope:SCOPE_SYS
	s_wait_loadcnt 0x0
	global_inv scope:SCOPE_SYS
	v_cmp_eq_u64_e32 vcc_lo, v[6:7], v[3:4]
	s_wait_alu 0xfffe
	s_or_b32 s5, vcc_lo, s5
	s_wait_alu 0xfffe
	s_and_not1_b32 exec_lo, exec_lo, s5
	s_cbranch_execnz .LBB8_29
; %bb.30:
	s_or_b32 exec_lo, exec_lo, s5
.LBB8_31:
	s_wait_alu 0xfffe
	s_or_b32 exec_lo, exec_lo, s4
.LBB8_32:
	s_wait_alu 0xfffe
	s_or_b32 exec_lo, exec_lo, s1
	v_readfirstlane_b32 s4, v6
	v_mov_b32_e32 v5, 0
	v_readfirstlane_b32 s5, v7
	s_mov_b32 s1, exec_lo
	s_wait_kmcnt 0x0
	s_clause 0x1
	global_load_b64 v[8:9], v5, s[2:3] offset:40
	global_load_b128 v[0:3], v5, s[2:3]
	s_wait_loadcnt 0x1
	s_wait_alu 0xf1ff
	v_and_b32_e32 v11, s5, v9
	v_and_b32_e32 v10, s4, v8
	s_delay_alu instid0(VALU_DEP_2) | instskip(NEXT) | instid1(VALU_DEP_2)
	v_mul_lo_u32 v4, 24, v11
	v_mul_lo_u32 v6, 0, v10
	v_mul_hi_u32 v7, 24, v10
	v_mul_lo_u32 v8, 24, v10
	s_delay_alu instid0(VALU_DEP_3) | instskip(SKIP_1) | instid1(VALU_DEP_2)
	v_add_nc_u32_e32 v4, v4, v6
	s_wait_loadcnt 0x0
	v_add_co_u32 v8, vcc_lo, v0, v8
	s_delay_alu instid0(VALU_DEP_2) | instskip(SKIP_1) | instid1(VALU_DEP_1)
	v_add_nc_u32_e32 v4, v4, v7
	s_wait_alu 0xfffd
	v_add_co_ci_u32_e64 v9, null, v1, v4, vcc_lo
	s_and_saveexec_b32 s6, s0
	s_cbranch_execz .LBB8_34
; %bb.33:
	s_wait_alu 0xfffe
	v_dual_mov_b32 v4, s1 :: v_dual_mov_b32 v7, 1
	v_mov_b32_e32 v6, 2
	global_store_b128 v[8:9], v[4:7], off offset:8
.LBB8_34:
	s_wait_alu 0xfffe
	s_or_b32 exec_lo, exec_lo, s6
	v_lshlrev_b64_e32 v[10:11], 12, v[10:11]
	v_dual_mov_b32 v7, v5 :: v_dual_lshlrev_b32 v30, 6, v31
	s_mov_b32 s8, 0
	s_wait_alu 0xfffe
	s_mov_b32 s11, s8
	s_delay_alu instid0(VALU_DEP_2)
	v_add_co_u32 v2, vcc_lo, v2, v10
	s_wait_alu 0xfffd
	v_add_co_ci_u32_e64 v3, null, v3, v11, vcc_lo
	s_mov_b32 s9, s8
	v_add_co_u32 v10, vcc_lo, v2, v30
	s_mov_b32 s10, s8
	s_wait_alu 0xfffe
	v_dual_mov_b32 v4, 33 :: v_dual_mov_b32 v15, s11
	v_dual_mov_b32 v6, v5 :: v_dual_mov_b32 v13, s9
	v_readfirstlane_b32 s6, v2
	v_readfirstlane_b32 s7, v3
	s_wait_alu 0xfffd
	v_add_co_ci_u32_e64 v11, null, 0, v3, vcc_lo
	v_mov_b32_e32 v14, s10
	v_mov_b32_e32 v12, s8
	s_clause 0x3
	global_store_b128 v30, v[4:7], s[6:7]
	global_store_b128 v30, v[12:15], s[6:7] offset:16
	global_store_b128 v30, v[12:15], s[6:7] offset:32
	;; [unrolled: 1-line block ×3, first 2 shown]
	s_and_saveexec_b32 s1, s0
	s_cbranch_execz .LBB8_42
; %bb.35:
	v_mov_b32_e32 v6, 0
	s_mov_b32 s6, exec_lo
	s_clause 0x1
	global_load_b64 v[14:15], v6, s[2:3] offset:32 scope:SCOPE_SYS
	global_load_b64 v[2:3], v6, s[2:3] offset:40
	v_dual_mov_b32 v13, s5 :: v_dual_mov_b32 v12, s4
	s_wait_loadcnt 0x0
	v_and_b32_e32 v3, s5, v3
	v_and_b32_e32 v2, s4, v2
	s_delay_alu instid0(VALU_DEP_2) | instskip(NEXT) | instid1(VALU_DEP_2)
	v_mul_lo_u32 v3, 24, v3
	v_mul_lo_u32 v4, 0, v2
	v_mul_hi_u32 v5, 24, v2
	v_mul_lo_u32 v2, 24, v2
	s_delay_alu instid0(VALU_DEP_3) | instskip(NEXT) | instid1(VALU_DEP_2)
	v_add_nc_u32_e32 v3, v3, v4
	v_add_co_u32 v4, vcc_lo, v0, v2
	s_delay_alu instid0(VALU_DEP_2) | instskip(SKIP_1) | instid1(VALU_DEP_1)
	v_add_nc_u32_e32 v3, v3, v5
	s_wait_alu 0xfffd
	v_add_co_ci_u32_e64 v5, null, v1, v3, vcc_lo
	global_store_b64 v[4:5], v[14:15], off
	global_wb scope:SCOPE_SYS
	s_wait_storecnt 0x0
	global_atomic_cmpswap_b64 v[2:3], v6, v[12:15], s[2:3] offset:32 th:TH_ATOMIC_RETURN scope:SCOPE_SYS
	s_wait_loadcnt 0x0
	v_cmpx_ne_u64_e64 v[2:3], v[14:15]
	s_cbranch_execz .LBB8_38
; %bb.36:
	s_mov_b32 s7, 0
.LBB8_37:                               ; =>This Inner Loop Header: Depth=1
	v_dual_mov_b32 v0, s4 :: v_dual_mov_b32 v1, s5
	s_sleep 1
	global_store_b64 v[4:5], v[2:3], off
	global_wb scope:SCOPE_SYS
	s_wait_storecnt 0x0
	global_atomic_cmpswap_b64 v[0:1], v6, v[0:3], s[2:3] offset:32 th:TH_ATOMIC_RETURN scope:SCOPE_SYS
	s_wait_loadcnt 0x0
	v_cmp_eq_u64_e32 vcc_lo, v[0:1], v[2:3]
	v_dual_mov_b32 v3, v1 :: v_dual_mov_b32 v2, v0
	s_wait_alu 0xfffe
	s_or_b32 s7, vcc_lo, s7
	s_wait_alu 0xfffe
	s_and_not1_b32 exec_lo, exec_lo, s7
	s_cbranch_execnz .LBB8_37
.LBB8_38:
	s_wait_alu 0xfffe
	s_or_b32 exec_lo, exec_lo, s6
	v_mov_b32_e32 v3, 0
	s_mov_b32 s7, exec_lo
	s_mov_b32 s6, exec_lo
	s_wait_alu 0xfffe
	v_mbcnt_lo_u32_b32 v2, s7, 0
	global_load_b64 v[0:1], v3, s[2:3] offset:16
	v_cmpx_eq_u32_e32 0, v2
	s_cbranch_execz .LBB8_40
; %bb.39:
	s_bcnt1_i32_b32 s7, s7
	s_wait_alu 0xfffe
	v_mov_b32_e32 v2, s7
	global_wb scope:SCOPE_SYS
	s_wait_loadcnt 0x0
	s_wait_storecnt 0x0
	global_atomic_add_u64 v[0:1], v[2:3], off offset:8 scope:SCOPE_SYS
.LBB8_40:
	s_or_b32 exec_lo, exec_lo, s6
	s_wait_loadcnt 0x0
	global_load_b64 v[2:3], v[0:1], off offset:16
	s_wait_loadcnt 0x0
	v_cmp_eq_u64_e32 vcc_lo, 0, v[2:3]
	s_cbranch_vccnz .LBB8_42
; %bb.41:
	global_load_b32 v0, v[0:1], off offset:24
	v_mov_b32_e32 v1, 0
	s_wait_loadcnt 0x0
	v_readfirstlane_b32 s6, v0
	global_wb scope:SCOPE_SYS
	s_wait_storecnt 0x0
	global_store_b64 v[2:3], v[0:1], off scope:SCOPE_SYS
	s_and_b32 m0, s6, 0xffffff
	s_sendmsg sendmsg(MSG_INTERRUPT)
.LBB8_42:
	s_wait_alu 0xfffe
	s_or_b32 exec_lo, exec_lo, s1
	s_branch .LBB8_46
.LBB8_43:                               ;   in Loop: Header=BB8_46 Depth=1
	s_wait_alu 0xfffe
	s_or_b32 exec_lo, exec_lo, s1
	s_delay_alu instid0(VALU_DEP_1)
	v_readfirstlane_b32 s1, v0
	s_cmp_eq_u32 s1, 0
	s_cbranch_scc1 .LBB8_45
; %bb.44:                               ;   in Loop: Header=BB8_46 Depth=1
	s_sleep 1
	s_cbranch_execnz .LBB8_46
	s_branch .LBB8_48
.LBB8_45:
	s_branch .LBB8_48
.LBB8_46:                               ; =>This Inner Loop Header: Depth=1
	v_mov_b32_e32 v0, 1
	s_and_saveexec_b32 s1, s0
	s_cbranch_execz .LBB8_43
; %bb.47:                               ;   in Loop: Header=BB8_46 Depth=1
	global_load_b32 v0, v[8:9], off offset:20 scope:SCOPE_SYS
	s_wait_loadcnt 0x0
	global_inv scope:SCOPE_SYS
	v_and_b32_e32 v0, 1, v0
	s_branch .LBB8_43
.LBB8_48:
	global_load_b64 v[0:1], v[10:11], off
	s_and_saveexec_b32 s6, s0
	s_cbranch_execz .LBB8_52
; %bb.49:
	v_mov_b32_e32 v8, 0
	s_clause 0x2
	global_load_b64 v[2:3], v8, s[2:3] offset:40
	global_load_b64 v[11:12], v8, s[2:3] offset:24 scope:SCOPE_SYS
	global_load_b64 v[4:5], v8, s[2:3]
	s_wait_loadcnt 0x2
	v_readfirstlane_b32 s8, v2
	v_readfirstlane_b32 s9, v3
	s_add_nc_u64 s[0:1], s[8:9], 1
	s_wait_alu 0xfffe
	s_add_nc_u64 s[4:5], s[0:1], s[4:5]
	s_wait_alu 0xfffe
	s_cmp_eq_u64 s[4:5], 0
	s_cselect_b32 s1, s1, s5
	s_cselect_b32 s0, s0, s4
	s_wait_alu 0xfffe
	v_mov_b32_e32 v10, s1
	s_and_b64 s[4:5], s[0:1], s[8:9]
	v_mov_b32_e32 v9, s0
	s_wait_alu 0xfffe
	s_mul_u64 s[4:5], s[4:5], 24
	s_wait_loadcnt 0x0
	s_wait_alu 0xfffe
	v_add_co_u32 v6, vcc_lo, v4, s4
	s_wait_alu 0xfffd
	v_add_co_ci_u32_e64 v7, null, s5, v5, vcc_lo
	global_store_b64 v[6:7], v[11:12], off
	global_wb scope:SCOPE_SYS
	s_wait_storecnt 0x0
	global_atomic_cmpswap_b64 v[4:5], v8, v[9:12], s[2:3] offset:24 th:TH_ATOMIC_RETURN scope:SCOPE_SYS
	s_wait_loadcnt 0x0
	v_cmp_ne_u64_e32 vcc_lo, v[4:5], v[11:12]
	s_and_b32 exec_lo, exec_lo, vcc_lo
	s_cbranch_execz .LBB8_52
; %bb.50:
	s_mov_b32 s4, 0
.LBB8_51:                               ; =>This Inner Loop Header: Depth=1
	v_dual_mov_b32 v2, s0 :: v_dual_mov_b32 v3, s1
	s_sleep 1
	global_store_b64 v[6:7], v[4:5], off
	global_wb scope:SCOPE_SYS
	s_wait_storecnt 0x0
	global_atomic_cmpswap_b64 v[2:3], v8, v[2:5], s[2:3] offset:24 th:TH_ATOMIC_RETURN scope:SCOPE_SYS
	s_wait_loadcnt 0x0
	v_cmp_eq_u64_e32 vcc_lo, v[2:3], v[4:5]
	v_dual_mov_b32 v5, v3 :: v_dual_mov_b32 v4, v2
	s_wait_alu 0xfffe
	s_or_b32 s4, vcc_lo, s4
	s_wait_alu 0xfffe
	s_and_not1_b32 exec_lo, exec_lo, s4
	s_cbranch_execnz .LBB8_51
.LBB8_52:
	s_wait_alu 0xfffe
	s_or_b32 exec_lo, exec_lo, s6
	s_getpc_b64 s[4:5]
	s_wait_alu 0xfffe
	s_sext_i32_i16 s5, s5
	s_add_co_u32 s4, s4, .str.28@rel32@lo+12
	s_wait_alu 0xfffe
	s_add_co_ci_u32 s5, s5, .str.28@rel32@hi+24
	s_wait_alu 0xfffe
	s_cmp_lg_u64 s[4:5], 0
	s_cbranch_scc0 .LBB8_131
; %bb.53:
	s_wait_loadcnt 0x0
	v_dual_mov_b32 v7, v1 :: v_dual_and_b32 v6, -3, v0
	v_dual_mov_b32 v3, 0 :: v_dual_mov_b32 v4, 2
	v_mov_b32_e32 v5, 1
	s_mov_b64 s[6:7], 35
	s_branch .LBB8_55
.LBB8_54:                               ;   in Loop: Header=BB8_55 Depth=1
	s_wait_alu 0xfffe
	s_or_b32 exec_lo, exec_lo, s12
	s_sub_nc_u64 s[6:7], s[6:7], s[8:9]
	s_add_nc_u64 s[4:5], s[4:5], s[8:9]
	s_wait_alu 0xfffe
	s_cmp_lg_u64 s[6:7], 0
	s_cbranch_scc0 .LBB8_130
.LBB8_55:                               ; =>This Loop Header: Depth=1
                                        ;     Child Loop BB8_58 Depth 2
                                        ;     Child Loop BB8_65 Depth 2
	;; [unrolled: 1-line block ×11, first 2 shown]
	s_wait_alu 0xfffe
	v_cmp_lt_u64_e64 s0, s[6:7], 56
	v_cmp_gt_u64_e64 s1, s[6:7], 7
	s_and_b32 s0, s0, exec_lo
	s_cselect_b32 s9, s7, 0
	s_cselect_b32 s8, s6, 56
	s_and_b32 vcc_lo, exec_lo, s1
	s_wait_alu 0xfffe
	s_cbranch_vccnz .LBB8_60
; %bb.56:                               ;   in Loop: Header=BB8_55 Depth=1
	s_wait_loadcnt 0x0
	v_mov_b32_e32 v8, 0
	v_mov_b32_e32 v9, 0
	s_cmp_eq_u64 s[6:7], 0
	s_cbranch_scc1 .LBB8_59
; %bb.57:                               ;   in Loop: Header=BB8_55 Depth=1
	s_mov_b64 s[0:1], 0
	s_mov_b64 s[10:11], 0
.LBB8_58:                               ;   Parent Loop BB8_55 Depth=1
                                        ; =>  This Inner Loop Header: Depth=2
	s_wait_alu 0xfffe
	s_add_nc_u64 s[12:13], s[4:5], s[10:11]
	s_add_nc_u64 s[10:11], s[10:11], 1
	global_load_u8 v2, v3, s[12:13]
	s_wait_alu 0xfffe
	s_cmp_lg_u32 s8, s10
	s_wait_loadcnt 0x0
	v_and_b32_e32 v2, 0xffff, v2
	s_delay_alu instid0(VALU_DEP_1) | instskip(SKIP_1) | instid1(VALU_DEP_1)
	v_lshlrev_b64_e32 v[10:11], s0, v[2:3]
	s_add_nc_u64 s[0:1], s[0:1], 8
	v_or_b32_e32 v8, v10, v8
	s_delay_alu instid0(VALU_DEP_2)
	v_or_b32_e32 v9, v11, v9
	s_cbranch_scc1 .LBB8_58
.LBB8_59:                               ;   in Loop: Header=BB8_55 Depth=1
	s_mov_b64 s[10:11], s[4:5]
	s_mov_b32 s14, 0
	s_cbranch_execz .LBB8_61
	s_branch .LBB8_62
.LBB8_60:                               ;   in Loop: Header=BB8_55 Depth=1
	s_add_nc_u64 s[10:11], s[4:5], 8
	s_mov_b32 s14, 0
.LBB8_61:                               ;   in Loop: Header=BB8_55 Depth=1
	s_wait_loadcnt 0x0
	global_load_b64 v[8:9], v3, s[4:5]
	s_add_co_i32 s14, s8, -8
.LBB8_62:                               ;   in Loop: Header=BB8_55 Depth=1
	s_wait_alu 0xfffe
	s_cmp_gt_u32 s14, 7
	s_cbranch_scc1 .LBB8_67
; %bb.63:                               ;   in Loop: Header=BB8_55 Depth=1
	v_mov_b32_e32 v10, 0
	v_mov_b32_e32 v11, 0
	s_cmp_eq_u32 s14, 0
	s_cbranch_scc1 .LBB8_66
; %bb.64:                               ;   in Loop: Header=BB8_55 Depth=1
	s_mov_b64 s[0:1], 0
	s_mov_b64 s[12:13], 0
.LBB8_65:                               ;   Parent Loop BB8_55 Depth=1
                                        ; =>  This Inner Loop Header: Depth=2
	s_wait_alu 0xfffe
	s_add_nc_u64 s[24:25], s[10:11], s[12:13]
	s_add_nc_u64 s[12:13], s[12:13], 1
	global_load_u8 v2, v3, s[24:25]
	s_wait_alu 0xfffe
	s_cmp_lg_u32 s14, s12
	s_wait_loadcnt 0x0
	v_and_b32_e32 v2, 0xffff, v2
	s_delay_alu instid0(VALU_DEP_1) | instskip(SKIP_1) | instid1(VALU_DEP_1)
	v_lshlrev_b64_e32 v[12:13], s0, v[2:3]
	s_add_nc_u64 s[0:1], s[0:1], 8
	v_or_b32_e32 v10, v12, v10
	s_delay_alu instid0(VALU_DEP_2)
	v_or_b32_e32 v11, v13, v11
	s_cbranch_scc1 .LBB8_65
.LBB8_66:                               ;   in Loop: Header=BB8_55 Depth=1
	s_mov_b64 s[0:1], s[10:11]
	s_mov_b32 s15, 0
	s_cbranch_execz .LBB8_68
	s_branch .LBB8_69
.LBB8_67:                               ;   in Loop: Header=BB8_55 Depth=1
	s_add_nc_u64 s[0:1], s[10:11], 8
                                        ; implicit-def: $vgpr10_vgpr11
	s_mov_b32 s15, 0
.LBB8_68:                               ;   in Loop: Header=BB8_55 Depth=1
	global_load_b64 v[10:11], v3, s[10:11]
	s_add_co_i32 s15, s14, -8
.LBB8_69:                               ;   in Loop: Header=BB8_55 Depth=1
	s_wait_alu 0xfffe
	s_cmp_gt_u32 s15, 7
	s_cbranch_scc1 .LBB8_74
; %bb.70:                               ;   in Loop: Header=BB8_55 Depth=1
	v_mov_b32_e32 v12, 0
	v_mov_b32_e32 v13, 0
	s_cmp_eq_u32 s15, 0
	s_cbranch_scc1 .LBB8_73
; %bb.71:                               ;   in Loop: Header=BB8_55 Depth=1
	s_mov_b64 s[10:11], 0
	s_mov_b64 s[12:13], 0
.LBB8_72:                               ;   Parent Loop BB8_55 Depth=1
                                        ; =>  This Inner Loop Header: Depth=2
	s_wait_alu 0xfffe
	s_add_nc_u64 s[24:25], s[0:1], s[12:13]
	s_add_nc_u64 s[12:13], s[12:13], 1
	global_load_u8 v2, v3, s[24:25]
	s_wait_alu 0xfffe
	s_cmp_lg_u32 s15, s12
	s_wait_loadcnt 0x0
	v_and_b32_e32 v2, 0xffff, v2
	s_delay_alu instid0(VALU_DEP_1) | instskip(SKIP_1) | instid1(VALU_DEP_1)
	v_lshlrev_b64_e32 v[14:15], s10, v[2:3]
	s_add_nc_u64 s[10:11], s[10:11], 8
	v_or_b32_e32 v12, v14, v12
	s_delay_alu instid0(VALU_DEP_2)
	v_or_b32_e32 v13, v15, v13
	s_cbranch_scc1 .LBB8_72
.LBB8_73:                               ;   in Loop: Header=BB8_55 Depth=1
	s_mov_b64 s[10:11], s[0:1]
	s_mov_b32 s14, 0
	s_cbranch_execz .LBB8_75
	s_branch .LBB8_76
.LBB8_74:                               ;   in Loop: Header=BB8_55 Depth=1
	s_add_nc_u64 s[10:11], s[0:1], 8
	s_mov_b32 s14, 0
.LBB8_75:                               ;   in Loop: Header=BB8_55 Depth=1
	global_load_b64 v[12:13], v3, s[0:1]
	s_add_co_i32 s14, s15, -8
.LBB8_76:                               ;   in Loop: Header=BB8_55 Depth=1
	s_wait_alu 0xfffe
	s_cmp_gt_u32 s14, 7
	s_cbranch_scc1 .LBB8_81
; %bb.77:                               ;   in Loop: Header=BB8_55 Depth=1
	v_mov_b32_e32 v14, 0
	v_mov_b32_e32 v15, 0
	s_cmp_eq_u32 s14, 0
	s_cbranch_scc1 .LBB8_80
; %bb.78:                               ;   in Loop: Header=BB8_55 Depth=1
	s_mov_b64 s[0:1], 0
	s_mov_b64 s[12:13], 0
.LBB8_79:                               ;   Parent Loop BB8_55 Depth=1
                                        ; =>  This Inner Loop Header: Depth=2
	s_wait_alu 0xfffe
	s_add_nc_u64 s[24:25], s[10:11], s[12:13]
	s_add_nc_u64 s[12:13], s[12:13], 1
	global_load_u8 v2, v3, s[24:25]
	s_wait_alu 0xfffe
	s_cmp_lg_u32 s14, s12
	s_wait_loadcnt 0x0
	v_and_b32_e32 v2, 0xffff, v2
	s_delay_alu instid0(VALU_DEP_1) | instskip(SKIP_1) | instid1(VALU_DEP_1)
	v_lshlrev_b64_e32 v[16:17], s0, v[2:3]
	s_add_nc_u64 s[0:1], s[0:1], 8
	v_or_b32_e32 v14, v16, v14
	s_delay_alu instid0(VALU_DEP_2)
	v_or_b32_e32 v15, v17, v15
	s_cbranch_scc1 .LBB8_79
.LBB8_80:                               ;   in Loop: Header=BB8_55 Depth=1
	s_mov_b64 s[0:1], s[10:11]
	s_mov_b32 s15, 0
	s_cbranch_execz .LBB8_82
	s_branch .LBB8_83
.LBB8_81:                               ;   in Loop: Header=BB8_55 Depth=1
	s_add_nc_u64 s[0:1], s[10:11], 8
                                        ; implicit-def: $vgpr14_vgpr15
	s_mov_b32 s15, 0
.LBB8_82:                               ;   in Loop: Header=BB8_55 Depth=1
	global_load_b64 v[14:15], v3, s[10:11]
	s_add_co_i32 s15, s14, -8
.LBB8_83:                               ;   in Loop: Header=BB8_55 Depth=1
	s_wait_alu 0xfffe
	s_cmp_gt_u32 s15, 7
	s_cbranch_scc1 .LBB8_88
; %bb.84:                               ;   in Loop: Header=BB8_55 Depth=1
	v_mov_b32_e32 v16, 0
	v_mov_b32_e32 v17, 0
	s_cmp_eq_u32 s15, 0
	s_cbranch_scc1 .LBB8_87
; %bb.85:                               ;   in Loop: Header=BB8_55 Depth=1
	s_mov_b64 s[10:11], 0
	s_mov_b64 s[12:13], 0
.LBB8_86:                               ;   Parent Loop BB8_55 Depth=1
                                        ; =>  This Inner Loop Header: Depth=2
	s_wait_alu 0xfffe
	s_add_nc_u64 s[24:25], s[0:1], s[12:13]
	s_add_nc_u64 s[12:13], s[12:13], 1
	global_load_u8 v2, v3, s[24:25]
	s_wait_alu 0xfffe
	s_cmp_lg_u32 s15, s12
	s_wait_loadcnt 0x0
	v_and_b32_e32 v2, 0xffff, v2
	s_delay_alu instid0(VALU_DEP_1) | instskip(SKIP_1) | instid1(VALU_DEP_1)
	v_lshlrev_b64_e32 v[18:19], s10, v[2:3]
	s_add_nc_u64 s[10:11], s[10:11], 8
	v_or_b32_e32 v16, v18, v16
	s_delay_alu instid0(VALU_DEP_2)
	v_or_b32_e32 v17, v19, v17
	s_cbranch_scc1 .LBB8_86
.LBB8_87:                               ;   in Loop: Header=BB8_55 Depth=1
	s_mov_b64 s[10:11], s[0:1]
	s_mov_b32 s14, 0
	s_cbranch_execz .LBB8_89
	s_branch .LBB8_90
.LBB8_88:                               ;   in Loop: Header=BB8_55 Depth=1
	s_add_nc_u64 s[10:11], s[0:1], 8
	s_mov_b32 s14, 0
.LBB8_89:                               ;   in Loop: Header=BB8_55 Depth=1
	global_load_b64 v[16:17], v3, s[0:1]
	s_add_co_i32 s14, s15, -8
.LBB8_90:                               ;   in Loop: Header=BB8_55 Depth=1
	s_wait_alu 0xfffe
	s_cmp_gt_u32 s14, 7
	s_cbranch_scc1 .LBB8_95
; %bb.91:                               ;   in Loop: Header=BB8_55 Depth=1
	v_mov_b32_e32 v18, 0
	v_mov_b32_e32 v19, 0
	s_cmp_eq_u32 s14, 0
	s_cbranch_scc1 .LBB8_94
; %bb.92:                               ;   in Loop: Header=BB8_55 Depth=1
	s_mov_b64 s[0:1], 0
	s_mov_b64 s[12:13], 0
.LBB8_93:                               ;   Parent Loop BB8_55 Depth=1
                                        ; =>  This Inner Loop Header: Depth=2
	s_wait_alu 0xfffe
	s_add_nc_u64 s[24:25], s[10:11], s[12:13]
	s_add_nc_u64 s[12:13], s[12:13], 1
	global_load_u8 v2, v3, s[24:25]
	s_wait_alu 0xfffe
	s_cmp_lg_u32 s14, s12
	s_wait_loadcnt 0x0
	v_and_b32_e32 v2, 0xffff, v2
	s_delay_alu instid0(VALU_DEP_1) | instskip(SKIP_1) | instid1(VALU_DEP_1)
	v_lshlrev_b64_e32 v[20:21], s0, v[2:3]
	s_add_nc_u64 s[0:1], s[0:1], 8
	v_or_b32_e32 v18, v20, v18
	s_delay_alu instid0(VALU_DEP_2)
	v_or_b32_e32 v19, v21, v19
	s_cbranch_scc1 .LBB8_93
.LBB8_94:                               ;   in Loop: Header=BB8_55 Depth=1
	s_mov_b64 s[0:1], s[10:11]
	s_mov_b32 s15, 0
	s_cbranch_execz .LBB8_96
	s_branch .LBB8_97
.LBB8_95:                               ;   in Loop: Header=BB8_55 Depth=1
	s_add_nc_u64 s[0:1], s[10:11], 8
                                        ; implicit-def: $vgpr18_vgpr19
	s_mov_b32 s15, 0
.LBB8_96:                               ;   in Loop: Header=BB8_55 Depth=1
	global_load_b64 v[18:19], v3, s[10:11]
	s_add_co_i32 s15, s14, -8
.LBB8_97:                               ;   in Loop: Header=BB8_55 Depth=1
	s_wait_alu 0xfffe
	s_cmp_gt_u32 s15, 7
	s_cbranch_scc1 .LBB8_102
; %bb.98:                               ;   in Loop: Header=BB8_55 Depth=1
	v_mov_b32_e32 v20, 0
	v_mov_b32_e32 v21, 0
	s_cmp_eq_u32 s15, 0
	s_cbranch_scc1 .LBB8_101
; %bb.99:                               ;   in Loop: Header=BB8_55 Depth=1
	s_mov_b64 s[10:11], 0
	s_mov_b64 s[12:13], s[0:1]
.LBB8_100:                              ;   Parent Loop BB8_55 Depth=1
                                        ; =>  This Inner Loop Header: Depth=2
	global_load_u8 v2, v3, s[12:13]
	s_add_co_i32 s15, s15, -1
	s_wait_alu 0xfffe
	s_add_nc_u64 s[12:13], s[12:13], 1
	s_cmp_lg_u32 s15, 0
	s_wait_loadcnt 0x0
	v_and_b32_e32 v2, 0xffff, v2
	s_delay_alu instid0(VALU_DEP_1) | instskip(SKIP_1) | instid1(VALU_DEP_1)
	v_lshlrev_b64_e32 v[22:23], s10, v[2:3]
	s_add_nc_u64 s[10:11], s[10:11], 8
	v_or_b32_e32 v20, v22, v20
	s_delay_alu instid0(VALU_DEP_2)
	v_or_b32_e32 v21, v23, v21
	s_cbranch_scc1 .LBB8_100
.LBB8_101:                              ;   in Loop: Header=BB8_55 Depth=1
	s_cbranch_execz .LBB8_103
	s_branch .LBB8_104
.LBB8_102:                              ;   in Loop: Header=BB8_55 Depth=1
.LBB8_103:                              ;   in Loop: Header=BB8_55 Depth=1
	global_load_b64 v[20:21], v3, s[0:1]
.LBB8_104:                              ;   in Loop: Header=BB8_55 Depth=1
	v_readfirstlane_b32 s0, v31
	v_mov_b32_e32 v26, 0
	v_mov_b32_e32 v27, 0
	s_wait_alu 0xf1ff
	s_delay_alu instid0(VALU_DEP_3)
	v_cmp_eq_u32_e64 s0, s0, v31
	s_and_saveexec_b32 s1, s0
	s_cbranch_execz .LBB8_110
; %bb.105:                              ;   in Loop: Header=BB8_55 Depth=1
	global_load_b64 v[24:25], v3, s[2:3] offset:24 scope:SCOPE_SYS
	s_wait_loadcnt 0x0
	global_inv scope:SCOPE_SYS
	s_clause 0x1
	global_load_b64 v[22:23], v3, s[2:3] offset:40
	global_load_b64 v[26:27], v3, s[2:3]
	s_mov_b32 s10, exec_lo
	s_wait_loadcnt 0x1
	v_and_b32_e32 v2, v23, v25
	v_and_b32_e32 v22, v22, v24
	s_delay_alu instid0(VALU_DEP_2) | instskip(NEXT) | instid1(VALU_DEP_2)
	v_mul_lo_u32 v2, 24, v2
	v_mul_lo_u32 v23, 0, v22
	v_mul_hi_u32 v28, 24, v22
	v_mul_lo_u32 v22, 24, v22
	s_delay_alu instid0(VALU_DEP_3) | instskip(SKIP_1) | instid1(VALU_DEP_2)
	v_add_nc_u32_e32 v2, v2, v23
	s_wait_loadcnt 0x0
	v_add_co_u32 v22, vcc_lo, v26, v22
	s_delay_alu instid0(VALU_DEP_2) | instskip(SKIP_1) | instid1(VALU_DEP_1)
	v_add_nc_u32_e32 v2, v2, v28
	s_wait_alu 0xfffd
	v_add_co_ci_u32_e64 v23, null, v27, v2, vcc_lo
	global_load_b64 v[22:23], v[22:23], off scope:SCOPE_SYS
	s_wait_loadcnt 0x0
	global_atomic_cmpswap_b64 v[26:27], v3, v[22:25], s[2:3] offset:24 th:TH_ATOMIC_RETURN scope:SCOPE_SYS
	s_wait_loadcnt 0x0
	global_inv scope:SCOPE_SYS
	v_cmpx_ne_u64_e64 v[26:27], v[24:25]
	s_cbranch_execz .LBB8_109
; %bb.106:                              ;   in Loop: Header=BB8_55 Depth=1
	s_mov_b32 s11, 0
.LBB8_107:                              ;   Parent Loop BB8_55 Depth=1
                                        ; =>  This Inner Loop Header: Depth=2
	s_sleep 1
	s_clause 0x1
	global_load_b64 v[22:23], v3, s[2:3] offset:40
	global_load_b64 v[28:29], v3, s[2:3]
	v_dual_mov_b32 v24, v26 :: v_dual_mov_b32 v25, v27
	s_wait_loadcnt 0x1
	s_delay_alu instid0(VALU_DEP_1) | instskip(NEXT) | instid1(VALU_DEP_2)
	v_and_b32_e32 v2, v22, v24
	v_and_b32_e32 v22, v23, v25
	s_wait_loadcnt 0x0
	s_delay_alu instid0(VALU_DEP_2) | instskip(NEXT) | instid1(VALU_DEP_1)
	v_mad_co_u64_u32 v[26:27], null, v2, 24, v[28:29]
	v_mov_b32_e32 v2, v27
	s_delay_alu instid0(VALU_DEP_1) | instskip(NEXT) | instid1(VALU_DEP_1)
	v_mad_co_u64_u32 v[22:23], null, v22, 24, v[2:3]
	v_mov_b32_e32 v27, v22
	global_load_b64 v[22:23], v[26:27], off scope:SCOPE_SYS
	s_wait_loadcnt 0x0
	global_atomic_cmpswap_b64 v[26:27], v3, v[22:25], s[2:3] offset:24 th:TH_ATOMIC_RETURN scope:SCOPE_SYS
	s_wait_loadcnt 0x0
	global_inv scope:SCOPE_SYS
	v_cmp_eq_u64_e32 vcc_lo, v[26:27], v[24:25]
	s_wait_alu 0xfffe
	s_or_b32 s11, vcc_lo, s11
	s_wait_alu 0xfffe
	s_and_not1_b32 exec_lo, exec_lo, s11
	s_cbranch_execnz .LBB8_107
; %bb.108:                              ;   in Loop: Header=BB8_55 Depth=1
	s_or_b32 exec_lo, exec_lo, s11
.LBB8_109:                              ;   in Loop: Header=BB8_55 Depth=1
	s_wait_alu 0xfffe
	s_or_b32 exec_lo, exec_lo, s10
.LBB8_110:                              ;   in Loop: Header=BB8_55 Depth=1
	s_wait_alu 0xfffe
	s_or_b32 exec_lo, exec_lo, s1
	s_clause 0x1
	global_load_b64 v[28:29], v3, s[2:3] offset:40
	global_load_b128 v[22:25], v3, s[2:3]
	v_readfirstlane_b32 s11, v27
	v_readfirstlane_b32 s10, v26
	s_mov_b32 s1, exec_lo
	s_wait_loadcnt 0x1
	s_wait_alu 0xf1ff
	v_and_b32_e32 v29, s11, v29
	v_and_b32_e32 v28, s10, v28
	s_delay_alu instid0(VALU_DEP_2) | instskip(NEXT) | instid1(VALU_DEP_2)
	v_mul_lo_u32 v2, 24, v29
	v_mul_lo_u32 v26, 0, v28
	v_mul_hi_u32 v27, 24, v28
	v_mul_lo_u32 v32, 24, v28
	s_delay_alu instid0(VALU_DEP_3) | instskip(SKIP_1) | instid1(VALU_DEP_2)
	v_add_nc_u32_e32 v2, v2, v26
	s_wait_loadcnt 0x0
	v_add_co_u32 v26, vcc_lo, v22, v32
	s_delay_alu instid0(VALU_DEP_2) | instskip(SKIP_1) | instid1(VALU_DEP_1)
	v_add_nc_u32_e32 v2, v2, v27
	s_wait_alu 0xfffd
	v_add_co_ci_u32_e64 v27, null, v23, v2, vcc_lo
	s_and_saveexec_b32 s12, s0
	s_cbranch_execz .LBB8_112
; %bb.111:                              ;   in Loop: Header=BB8_55 Depth=1
	s_wait_alu 0xfffe
	v_mov_b32_e32 v2, s1
	global_store_b128 v[26:27], v[2:5], off offset:8
.LBB8_112:                              ;   in Loop: Header=BB8_55 Depth=1
	s_wait_alu 0xfffe
	s_or_b32 exec_lo, exec_lo, s12
	v_cmp_gt_u64_e64 s1, s[6:7], 56
	v_lshlrev_b64_e32 v[28:29], 12, v[28:29]
	v_and_b32_e32 v2, 0xffffff1f, v6
	s_and_b32 s1, s1, exec_lo
	s_delay_alu instid0(VALU_DEP_2)
	v_add_co_u32 v24, vcc_lo, v24, v28
	s_cselect_b32 s1, 0, 2
	s_wait_alu 0xfffd
	v_add_co_ci_u32_e64 v25, null, v25, v29, vcc_lo
	s_wait_alu 0xfffe
	v_or_b32_e32 v2, s1, v2
	s_lshl_b32 s12, s8, 2
	s_wait_alu 0xfffe
	s_add_co_i32 s1, s12, 28
	v_readfirstlane_b32 s12, v24
	v_readfirstlane_b32 s13, v25
	s_wait_alu 0xfffe
	v_and_or_b32 v6, 0x1e0, s1, v2
	s_clause 0x3
	global_store_b128 v30, v[6:9], s[12:13]
	global_store_b128 v30, v[10:13], s[12:13] offset:16
	global_store_b128 v30, v[14:17], s[12:13] offset:32
	;; [unrolled: 1-line block ×3, first 2 shown]
	s_and_saveexec_b32 s1, s0
	s_cbranch_execz .LBB8_120
; %bb.113:                              ;   in Loop: Header=BB8_55 Depth=1
	s_clause 0x1
	global_load_b64 v[14:15], v3, s[2:3] offset:32 scope:SCOPE_SYS
	global_load_b64 v[6:7], v3, s[2:3] offset:40
	v_mov_b32_e32 v12, s10
	s_mov_b32 s12, exec_lo
	s_wait_loadcnt 0x0
	v_dual_mov_b32 v13, s11 :: v_dual_and_b32 v2, s11, v7
	v_and_b32_e32 v6, s10, v6
	s_delay_alu instid0(VALU_DEP_2) | instskip(NEXT) | instid1(VALU_DEP_2)
	v_mul_lo_u32 v2, 24, v2
	v_mul_lo_u32 v7, 0, v6
	v_mul_hi_u32 v8, 24, v6
	v_mul_lo_u32 v6, 24, v6
	s_delay_alu instid0(VALU_DEP_3) | instskip(NEXT) | instid1(VALU_DEP_2)
	v_add_nc_u32_e32 v2, v2, v7
	v_add_co_u32 v10, vcc_lo, v22, v6
	s_delay_alu instid0(VALU_DEP_2) | instskip(SKIP_1) | instid1(VALU_DEP_1)
	v_add_nc_u32_e32 v2, v2, v8
	s_wait_alu 0xfffd
	v_add_co_ci_u32_e64 v11, null, v23, v2, vcc_lo
	global_store_b64 v[10:11], v[14:15], off
	global_wb scope:SCOPE_SYS
	s_wait_storecnt 0x0
	global_atomic_cmpswap_b64 v[8:9], v3, v[12:15], s[2:3] offset:32 th:TH_ATOMIC_RETURN scope:SCOPE_SYS
	s_wait_loadcnt 0x0
	v_cmpx_ne_u64_e64 v[8:9], v[14:15]
	s_cbranch_execz .LBB8_116
; %bb.114:                              ;   in Loop: Header=BB8_55 Depth=1
	s_mov_b32 s13, 0
.LBB8_115:                              ;   Parent Loop BB8_55 Depth=1
                                        ; =>  This Inner Loop Header: Depth=2
	v_dual_mov_b32 v6, s10 :: v_dual_mov_b32 v7, s11
	s_sleep 1
	global_store_b64 v[10:11], v[8:9], off
	global_wb scope:SCOPE_SYS
	s_wait_storecnt 0x0
	global_atomic_cmpswap_b64 v[6:7], v3, v[6:9], s[2:3] offset:32 th:TH_ATOMIC_RETURN scope:SCOPE_SYS
	s_wait_loadcnt 0x0
	v_cmp_eq_u64_e32 vcc_lo, v[6:7], v[8:9]
	v_dual_mov_b32 v9, v7 :: v_dual_mov_b32 v8, v6
	s_wait_alu 0xfffe
	s_or_b32 s13, vcc_lo, s13
	s_wait_alu 0xfffe
	s_and_not1_b32 exec_lo, exec_lo, s13
	s_cbranch_execnz .LBB8_115
.LBB8_116:                              ;   in Loop: Header=BB8_55 Depth=1
	s_wait_alu 0xfffe
	s_or_b32 exec_lo, exec_lo, s12
	global_load_b64 v[6:7], v3, s[2:3] offset:16
	s_mov_b32 s13, exec_lo
	s_mov_b32 s12, exec_lo
	s_wait_alu 0xfffe
	v_mbcnt_lo_u32_b32 v2, s13, 0
	s_delay_alu instid0(VALU_DEP_1)
	v_cmpx_eq_u32_e32 0, v2
	s_cbranch_execz .LBB8_118
; %bb.117:                              ;   in Loop: Header=BB8_55 Depth=1
	s_bcnt1_i32_b32 s13, s13
	s_wait_alu 0xfffe
	v_mov_b32_e32 v2, s13
	global_wb scope:SCOPE_SYS
	s_wait_loadcnt 0x0
	s_wait_storecnt 0x0
	global_atomic_add_u64 v[6:7], v[2:3], off offset:8 scope:SCOPE_SYS
.LBB8_118:                              ;   in Loop: Header=BB8_55 Depth=1
	s_or_b32 exec_lo, exec_lo, s12
	s_wait_loadcnt 0x0
	global_load_b64 v[8:9], v[6:7], off offset:16
	s_wait_loadcnt 0x0
	v_cmp_eq_u64_e32 vcc_lo, 0, v[8:9]
	s_cbranch_vccnz .LBB8_120
; %bb.119:                              ;   in Loop: Header=BB8_55 Depth=1
	global_load_b32 v2, v[6:7], off offset:24
	s_wait_loadcnt 0x0
	v_readfirstlane_b32 s12, v2
	global_wb scope:SCOPE_SYS
	s_wait_storecnt 0x0
	global_store_b64 v[8:9], v[2:3], off scope:SCOPE_SYS
	s_and_b32 m0, s12, 0xffffff
	s_sendmsg sendmsg(MSG_INTERRUPT)
.LBB8_120:                              ;   in Loop: Header=BB8_55 Depth=1
	s_wait_alu 0xfffe
	s_or_b32 exec_lo, exec_lo, s1
	v_add_co_u32 v6, vcc_lo, v24, v30
	s_wait_alu 0xfffd
	v_add_co_ci_u32_e64 v7, null, 0, v25, vcc_lo
	s_branch .LBB8_124
.LBB8_121:                              ;   in Loop: Header=BB8_124 Depth=2
	s_wait_alu 0xfffe
	s_or_b32 exec_lo, exec_lo, s1
	s_delay_alu instid0(VALU_DEP_1)
	v_readfirstlane_b32 s1, v2
	s_cmp_eq_u32 s1, 0
	s_cbranch_scc1 .LBB8_123
; %bb.122:                              ;   in Loop: Header=BB8_124 Depth=2
	s_sleep 1
	s_cbranch_execnz .LBB8_124
	s_branch .LBB8_126
.LBB8_123:                              ;   in Loop: Header=BB8_55 Depth=1
	s_branch .LBB8_126
.LBB8_124:                              ;   Parent Loop BB8_55 Depth=1
                                        ; =>  This Inner Loop Header: Depth=2
	v_mov_b32_e32 v2, 1
	s_and_saveexec_b32 s1, s0
	s_cbranch_execz .LBB8_121
; %bb.125:                              ;   in Loop: Header=BB8_124 Depth=2
	global_load_b32 v2, v[26:27], off offset:20 scope:SCOPE_SYS
	s_wait_loadcnt 0x0
	global_inv scope:SCOPE_SYS
	v_and_b32_e32 v2, 1, v2
	s_branch .LBB8_121
.LBB8_126:                              ;   in Loop: Header=BB8_55 Depth=1
	global_load_b128 v[6:9], v[6:7], off
	s_and_saveexec_b32 s12, s0
	s_cbranch_execz .LBB8_54
; %bb.127:                              ;   in Loop: Header=BB8_55 Depth=1
	s_wait_loadcnt 0x0
	s_clause 0x2
	global_load_b64 v[8:9], v3, s[2:3] offset:40
	global_load_b64 v[16:17], v3, s[2:3] offset:24 scope:SCOPE_SYS
	global_load_b64 v[10:11], v3, s[2:3]
	s_wait_loadcnt 0x2
	v_readfirstlane_b32 s14, v8
	v_readfirstlane_b32 s15, v9
	s_add_nc_u64 s[0:1], s[14:15], 1
	s_wait_alu 0xfffe
	s_add_nc_u64 s[10:11], s[0:1], s[10:11]
	s_wait_alu 0xfffe
	s_cmp_eq_u64 s[10:11], 0
	s_cselect_b32 s1, s1, s11
	s_cselect_b32 s0, s0, s10
	s_wait_alu 0xfffe
	v_dual_mov_b32 v15, s1 :: v_dual_mov_b32 v14, s0
	s_and_b64 s[10:11], s[0:1], s[14:15]
	s_wait_alu 0xfffe
	s_mul_u64 s[10:11], s[10:11], 24
	s_wait_loadcnt 0x0
	s_wait_alu 0xfffe
	v_add_co_u32 v12, vcc_lo, v10, s10
	s_wait_alu 0xfffd
	v_add_co_ci_u32_e64 v13, null, s11, v11, vcc_lo
	global_store_b64 v[12:13], v[16:17], off
	global_wb scope:SCOPE_SYS
	s_wait_storecnt 0x0
	global_atomic_cmpswap_b64 v[10:11], v3, v[14:17], s[2:3] offset:24 th:TH_ATOMIC_RETURN scope:SCOPE_SYS
	s_wait_loadcnt 0x0
	v_cmp_ne_u64_e32 vcc_lo, v[10:11], v[16:17]
	s_and_b32 exec_lo, exec_lo, vcc_lo
	s_cbranch_execz .LBB8_54
; %bb.128:                              ;   in Loop: Header=BB8_55 Depth=1
	s_mov_b32 s10, 0
.LBB8_129:                              ;   Parent Loop BB8_55 Depth=1
                                        ; =>  This Inner Loop Header: Depth=2
	v_dual_mov_b32 v8, s0 :: v_dual_mov_b32 v9, s1
	s_sleep 1
	global_store_b64 v[12:13], v[10:11], off
	global_wb scope:SCOPE_SYS
	s_wait_storecnt 0x0
	global_atomic_cmpswap_b64 v[8:9], v3, v[8:11], s[2:3] offset:24 th:TH_ATOMIC_RETURN scope:SCOPE_SYS
	s_wait_loadcnt 0x0
	v_cmp_eq_u64_e32 vcc_lo, v[8:9], v[10:11]
	v_dual_mov_b32 v11, v9 :: v_dual_mov_b32 v10, v8
	s_wait_alu 0xfffe
	s_or_b32 s10, vcc_lo, s10
	s_wait_alu 0xfffe
	s_and_not1_b32 exec_lo, exec_lo, s10
	s_cbranch_execnz .LBB8_129
	s_branch .LBB8_54
.LBB8_130:
	s_mov_b32 s0, 0
	s_branch .LBB8_132
.LBB8_131:
	s_mov_b32 s0, -1
.LBB8_132:
	s_wait_alu 0xfffe
	s_and_b32 vcc_lo, exec_lo, s0
	s_wait_alu 0xfffe
	s_cbranch_vccz .LBB8_160
; %bb.133:
	v_readfirstlane_b32 s0, v31
	s_wait_loadcnt 0x0
	v_mov_b32_e32 v8, 0
	v_mov_b32_e32 v9, 0
	s_wait_alu 0xf1ff
	v_cmp_eq_u32_e64 s0, s0, v31
	s_and_saveexec_b32 s1, s0
	s_cbranch_execz .LBB8_139
; %bb.134:
	v_mov_b32_e32 v2, 0
	s_mov_b32 s4, exec_lo
	global_load_b64 v[5:6], v2, s[2:3] offset:24 scope:SCOPE_SYS
	s_wait_loadcnt 0x0
	global_inv scope:SCOPE_SYS
	s_clause 0x1
	global_load_b64 v[3:4], v2, s[2:3] offset:40
	global_load_b64 v[7:8], v2, s[2:3]
	s_wait_loadcnt 0x1
	v_and_b32_e32 v4, v4, v6
	v_and_b32_e32 v3, v3, v5
	s_delay_alu instid0(VALU_DEP_2) | instskip(NEXT) | instid1(VALU_DEP_2)
	v_mul_lo_u32 v4, 24, v4
	v_mul_lo_u32 v9, 0, v3
	v_mul_hi_u32 v10, 24, v3
	v_mul_lo_u32 v3, 24, v3
	s_delay_alu instid0(VALU_DEP_3) | instskip(SKIP_1) | instid1(VALU_DEP_2)
	v_add_nc_u32_e32 v4, v4, v9
	s_wait_loadcnt 0x0
	v_add_co_u32 v3, vcc_lo, v7, v3
	s_delay_alu instid0(VALU_DEP_2) | instskip(SKIP_1) | instid1(VALU_DEP_1)
	v_add_nc_u32_e32 v4, v4, v10
	s_wait_alu 0xfffd
	v_add_co_ci_u32_e64 v4, null, v8, v4, vcc_lo
	global_load_b64 v[3:4], v[3:4], off scope:SCOPE_SYS
	s_wait_loadcnt 0x0
	global_atomic_cmpswap_b64 v[8:9], v2, v[3:6], s[2:3] offset:24 th:TH_ATOMIC_RETURN scope:SCOPE_SYS
	s_wait_loadcnt 0x0
	global_inv scope:SCOPE_SYS
	v_cmpx_ne_u64_e64 v[8:9], v[5:6]
	s_cbranch_execz .LBB8_138
; %bb.135:
	s_mov_b32 s5, 0
.LBB8_136:                              ; =>This Inner Loop Header: Depth=1
	s_sleep 1
	s_clause 0x1
	global_load_b64 v[3:4], v2, s[2:3] offset:40
	global_load_b64 v[10:11], v2, s[2:3]
	v_dual_mov_b32 v5, v8 :: v_dual_mov_b32 v6, v9
	s_wait_loadcnt 0x1
	s_delay_alu instid0(VALU_DEP_1) | instskip(NEXT) | instid1(VALU_DEP_2)
	v_and_b32_e32 v3, v3, v5
	v_and_b32_e32 v4, v4, v6
	s_wait_loadcnt 0x0
	s_delay_alu instid0(VALU_DEP_2) | instskip(NEXT) | instid1(VALU_DEP_1)
	v_mad_co_u64_u32 v[7:8], null, v3, 24, v[10:11]
	v_mov_b32_e32 v3, v8
	s_delay_alu instid0(VALU_DEP_1) | instskip(NEXT) | instid1(VALU_DEP_1)
	v_mad_co_u64_u32 v[3:4], null, v4, 24, v[3:4]
	v_mov_b32_e32 v8, v3
	global_load_b64 v[3:4], v[7:8], off scope:SCOPE_SYS
	s_wait_loadcnt 0x0
	global_atomic_cmpswap_b64 v[8:9], v2, v[3:6], s[2:3] offset:24 th:TH_ATOMIC_RETURN scope:SCOPE_SYS
	s_wait_loadcnt 0x0
	global_inv scope:SCOPE_SYS
	v_cmp_eq_u64_e32 vcc_lo, v[8:9], v[5:6]
	s_wait_alu 0xfffe
	s_or_b32 s5, vcc_lo, s5
	s_wait_alu 0xfffe
	s_and_not1_b32 exec_lo, exec_lo, s5
	s_cbranch_execnz .LBB8_136
; %bb.137:
	s_or_b32 exec_lo, exec_lo, s5
.LBB8_138:
	s_wait_alu 0xfffe
	s_or_b32 exec_lo, exec_lo, s4
.LBB8_139:
	s_wait_alu 0xfffe
	s_or_b32 exec_lo, exec_lo, s1
	v_readfirstlane_b32 s5, v9
	v_mov_b32_e32 v2, 0
	v_readfirstlane_b32 s4, v8
	s_mov_b32 s1, exec_lo
	s_clause 0x1
	global_load_b64 v[10:11], v2, s[2:3] offset:40
	global_load_b128 v[4:7], v2, s[2:3]
	s_wait_loadcnt 0x1
	s_wait_alu 0xf1ff
	v_and_b32_e32 v11, s5, v11
	v_and_b32_e32 v10, s4, v10
	s_delay_alu instid0(VALU_DEP_2) | instskip(NEXT) | instid1(VALU_DEP_2)
	v_mul_lo_u32 v3, 24, v11
	v_mul_lo_u32 v8, 0, v10
	v_mul_hi_u32 v9, 24, v10
	v_mul_lo_u32 v12, 24, v10
	s_delay_alu instid0(VALU_DEP_3) | instskip(SKIP_1) | instid1(VALU_DEP_2)
	v_add_nc_u32_e32 v3, v3, v8
	s_wait_loadcnt 0x0
	v_add_co_u32 v8, vcc_lo, v4, v12
	s_delay_alu instid0(VALU_DEP_2) | instskip(SKIP_1) | instid1(VALU_DEP_1)
	v_add_nc_u32_e32 v3, v3, v9
	s_wait_alu 0xfffd
	v_add_co_ci_u32_e64 v9, null, v5, v3, vcc_lo
	s_and_saveexec_b32 s6, s0
	s_cbranch_execz .LBB8_141
; %bb.140:
	s_wait_alu 0xfffe
	v_dual_mov_b32 v12, s1 :: v_dual_mov_b32 v13, v2
	v_dual_mov_b32 v14, 2 :: v_dual_mov_b32 v15, 1
	global_store_b128 v[8:9], v[12:15], off offset:8
.LBB8_141:
	s_wait_alu 0xfffe
	s_or_b32 exec_lo, exec_lo, s6
	v_lshlrev_b64_e32 v[10:11], 12, v[10:11]
	s_mov_b32 s8, 0
	v_and_or_b32 v0, 0xffffff1d, v0, 34
	s_wait_alu 0xfffe
	s_mov_b32 s11, s8
	s_mov_b32 s9, s8
	;; [unrolled: 1-line block ×3, first 2 shown]
	v_add_co_u32 v6, vcc_lo, v6, v10
	s_wait_alu 0xfffd
	v_add_co_ci_u32_e64 v7, null, v7, v11, vcc_lo
	v_mov_b32_e32 v3, v2
	s_delay_alu instid0(VALU_DEP_3)
	v_readfirstlane_b32 s6, v6
	s_wait_alu 0xfffe
	v_dual_mov_b32 v13, s11 :: v_dual_mov_b32 v10, s8
	v_readfirstlane_b32 s7, v7
	v_dual_mov_b32 v12, s10 :: v_dual_mov_b32 v11, s9
	s_clause 0x3
	global_store_b128 v30, v[0:3], s[6:7]
	global_store_b128 v30, v[10:13], s[6:7] offset:16
	global_store_b128 v30, v[10:13], s[6:7] offset:32
	global_store_b128 v30, v[10:13], s[6:7] offset:48
	s_and_saveexec_b32 s1, s0
	s_cbranch_execz .LBB8_149
; %bb.142:
	v_mov_b32_e32 v6, 0
	s_mov_b32 s6, exec_lo
	s_clause 0x1
	global_load_b64 v[12:13], v6, s[2:3] offset:32 scope:SCOPE_SYS
	global_load_b64 v[0:1], v6, s[2:3] offset:40
	v_dual_mov_b32 v11, s5 :: v_dual_mov_b32 v10, s4
	s_wait_loadcnt 0x0
	v_and_b32_e32 v1, s5, v1
	v_and_b32_e32 v0, s4, v0
	s_delay_alu instid0(VALU_DEP_2) | instskip(NEXT) | instid1(VALU_DEP_2)
	v_mul_lo_u32 v1, 24, v1
	v_mul_lo_u32 v2, 0, v0
	v_mul_hi_u32 v3, 24, v0
	v_mul_lo_u32 v0, 24, v0
	s_delay_alu instid0(VALU_DEP_3) | instskip(NEXT) | instid1(VALU_DEP_2)
	v_add_nc_u32_e32 v1, v1, v2
	v_add_co_u32 v4, vcc_lo, v4, v0
	s_delay_alu instid0(VALU_DEP_2) | instskip(SKIP_1) | instid1(VALU_DEP_1)
	v_add_nc_u32_e32 v1, v1, v3
	s_wait_alu 0xfffd
	v_add_co_ci_u32_e64 v5, null, v5, v1, vcc_lo
	global_store_b64 v[4:5], v[12:13], off
	global_wb scope:SCOPE_SYS
	s_wait_storecnt 0x0
	global_atomic_cmpswap_b64 v[2:3], v6, v[10:13], s[2:3] offset:32 th:TH_ATOMIC_RETURN scope:SCOPE_SYS
	s_wait_loadcnt 0x0
	v_cmpx_ne_u64_e64 v[2:3], v[12:13]
	s_cbranch_execz .LBB8_145
; %bb.143:
	s_mov_b32 s7, 0
.LBB8_144:                              ; =>This Inner Loop Header: Depth=1
	v_dual_mov_b32 v0, s4 :: v_dual_mov_b32 v1, s5
	s_sleep 1
	global_store_b64 v[4:5], v[2:3], off
	global_wb scope:SCOPE_SYS
	s_wait_storecnt 0x0
	global_atomic_cmpswap_b64 v[0:1], v6, v[0:3], s[2:3] offset:32 th:TH_ATOMIC_RETURN scope:SCOPE_SYS
	s_wait_loadcnt 0x0
	v_cmp_eq_u64_e32 vcc_lo, v[0:1], v[2:3]
	v_dual_mov_b32 v3, v1 :: v_dual_mov_b32 v2, v0
	s_wait_alu 0xfffe
	s_or_b32 s7, vcc_lo, s7
	s_wait_alu 0xfffe
	s_and_not1_b32 exec_lo, exec_lo, s7
	s_cbranch_execnz .LBB8_144
.LBB8_145:
	s_wait_alu 0xfffe
	s_or_b32 exec_lo, exec_lo, s6
	v_mov_b32_e32 v3, 0
	s_mov_b32 s7, exec_lo
	s_mov_b32 s6, exec_lo
	s_wait_alu 0xfffe
	v_mbcnt_lo_u32_b32 v2, s7, 0
	global_load_b64 v[0:1], v3, s[2:3] offset:16
	v_cmpx_eq_u32_e32 0, v2
	s_cbranch_execz .LBB8_147
; %bb.146:
	s_bcnt1_i32_b32 s7, s7
	s_wait_alu 0xfffe
	v_mov_b32_e32 v2, s7
	global_wb scope:SCOPE_SYS
	s_wait_loadcnt 0x0
	s_wait_storecnt 0x0
	global_atomic_add_u64 v[0:1], v[2:3], off offset:8 scope:SCOPE_SYS
.LBB8_147:
	s_or_b32 exec_lo, exec_lo, s6
	s_wait_loadcnt 0x0
	global_load_b64 v[2:3], v[0:1], off offset:16
	s_wait_loadcnt 0x0
	v_cmp_eq_u64_e32 vcc_lo, 0, v[2:3]
	s_cbranch_vccnz .LBB8_149
; %bb.148:
	global_load_b32 v0, v[0:1], off offset:24
	v_mov_b32_e32 v1, 0
	s_wait_loadcnt 0x0
	v_readfirstlane_b32 s6, v0
	global_wb scope:SCOPE_SYS
	s_wait_storecnt 0x0
	global_store_b64 v[2:3], v[0:1], off scope:SCOPE_SYS
	s_and_b32 m0, s6, 0xffffff
	s_sendmsg sendmsg(MSG_INTERRUPT)
.LBB8_149:
	s_wait_alu 0xfffe
	s_or_b32 exec_lo, exec_lo, s1
	s_branch .LBB8_153
.LBB8_150:                              ;   in Loop: Header=BB8_153 Depth=1
	s_wait_alu 0xfffe
	s_or_b32 exec_lo, exec_lo, s1
	s_delay_alu instid0(VALU_DEP_1)
	v_readfirstlane_b32 s1, v0
	s_cmp_eq_u32 s1, 0
	s_cbranch_scc1 .LBB8_152
; %bb.151:                              ;   in Loop: Header=BB8_153 Depth=1
	s_sleep 1
	s_cbranch_execnz .LBB8_153
	s_branch .LBB8_155
.LBB8_152:
	s_branch .LBB8_155
.LBB8_153:                              ; =>This Inner Loop Header: Depth=1
	v_mov_b32_e32 v0, 1
	s_and_saveexec_b32 s1, s0
	s_cbranch_execz .LBB8_150
; %bb.154:                              ;   in Loop: Header=BB8_153 Depth=1
	global_load_b32 v0, v[8:9], off offset:20 scope:SCOPE_SYS
	s_wait_loadcnt 0x0
	global_inv scope:SCOPE_SYS
	v_and_b32_e32 v0, 1, v0
	s_branch .LBB8_150
.LBB8_155:
	s_and_saveexec_b32 s6, s0
	s_cbranch_execz .LBB8_159
; %bb.156:
	v_mov_b32_e32 v6, 0
	s_clause 0x2
	global_load_b64 v[0:1], v6, s[2:3] offset:40
	global_load_b64 v[9:10], v6, s[2:3] offset:24 scope:SCOPE_SYS
	global_load_b64 v[2:3], v6, s[2:3]
	s_wait_loadcnt 0x2
	v_readfirstlane_b32 s8, v0
	v_readfirstlane_b32 s9, v1
	s_add_nc_u64 s[0:1], s[8:9], 1
	s_wait_alu 0xfffe
	s_add_nc_u64 s[4:5], s[0:1], s[4:5]
	s_wait_alu 0xfffe
	s_cmp_eq_u64 s[4:5], 0
	s_cselect_b32 s1, s1, s5
	s_cselect_b32 s0, s0, s4
	s_wait_alu 0xfffe
	v_mov_b32_e32 v8, s1
	s_and_b64 s[4:5], s[0:1], s[8:9]
	v_mov_b32_e32 v7, s0
	s_wait_alu 0xfffe
	s_mul_u64 s[4:5], s[4:5], 24
	s_wait_loadcnt 0x0
	s_wait_alu 0xfffe
	v_add_co_u32 v4, vcc_lo, v2, s4
	s_wait_alu 0xfffd
	v_add_co_ci_u32_e64 v5, null, s5, v3, vcc_lo
	global_store_b64 v[4:5], v[9:10], off
	global_wb scope:SCOPE_SYS
	s_wait_storecnt 0x0
	global_atomic_cmpswap_b64 v[2:3], v6, v[7:10], s[2:3] offset:24 th:TH_ATOMIC_RETURN scope:SCOPE_SYS
	s_wait_loadcnt 0x0
	v_cmp_ne_u64_e32 vcc_lo, v[2:3], v[9:10]
	s_and_b32 exec_lo, exec_lo, vcc_lo
	s_cbranch_execz .LBB8_159
; %bb.157:
	s_mov_b32 s4, 0
.LBB8_158:                              ; =>This Inner Loop Header: Depth=1
	v_dual_mov_b32 v0, s0 :: v_dual_mov_b32 v1, s1
	s_sleep 1
	global_store_b64 v[4:5], v[2:3], off
	global_wb scope:SCOPE_SYS
	s_wait_storecnt 0x0
	global_atomic_cmpswap_b64 v[0:1], v6, v[0:3], s[2:3] offset:24 th:TH_ATOMIC_RETURN scope:SCOPE_SYS
	s_wait_loadcnt 0x0
	v_cmp_eq_u64_e32 vcc_lo, v[0:1], v[2:3]
	v_dual_mov_b32 v3, v1 :: v_dual_mov_b32 v2, v0
	s_wait_alu 0xfffe
	s_or_b32 s4, vcc_lo, s4
	s_wait_alu 0xfffe
	s_and_not1_b32 exec_lo, exec_lo, s4
	s_cbranch_execnz .LBB8_158
.LBB8_159:
	s_wait_alu 0xfffe
	s_or_b32 exec_lo, exec_lo, s6
.LBB8_160:
	s_getpc_b64 s[0:1]
	s_wait_alu 0xfffe
	s_sext_i32_i16 s1, s1
	s_add_co_u32 s0, s0, .str.29@rel32@lo+12
	s_wait_alu 0xfffe
	s_add_co_ci_u32 s1, s1, .str.29@rel32@hi+24
	s_getpc_b64 s[2:3]
	s_wait_alu 0xfffe
	s_sext_i32_i16 s3, s3
	s_add_co_u32 s2, s2, .str.19@rel32@lo+12
	s_wait_alu 0xfffe
	s_add_co_ci_u32 s3, s3, .str.19@rel32@hi+24
	s_getpc_b64 s[4:5]
	s_wait_alu 0xfffe
	s_sext_i32_i16 s5, s5
	s_add_co_u32 s4, s4, __PRETTY_FUNCTION__._ZN7VecsMemIjLi8192EE5fetchEi@rel32@lo+12
	s_wait_alu 0xfffe
	s_add_co_ci_u32 s5, s5, __PRETTY_FUNCTION__._ZN7VecsMemIjLi8192EE5fetchEi@rel32@hi+24
	s_wait_loadcnt 0x0
	v_dual_mov_b32 v0, s0 :: v_dual_mov_b32 v1, s1
	v_dual_mov_b32 v2, s2 :: v_dual_mov_b32 v3, s3
	;; [unrolled: 1-line block ×3, first 2 shown]
	s_wait_alu 0xfffe
	v_mov_b32_e32 v6, s5
	s_getpc_b64 s[6:7]
	s_wait_alu 0xfffe
	s_sext_i32_i16 s7, s7
	s_add_co_u32 s6, s6, __assert_fail@rel32@lo+12
	s_wait_alu 0xfffe
	s_add_co_ci_u32 s7, s7, __assert_fail@rel32@hi+24
	s_mov_b64 s[8:9], s[86:87]
	s_wait_alu 0xfffe
	s_swappc_b64 s[30:31], s[6:7]
	s_or_b32 s0, s29, exec_lo
.LBB8_161:
	s_or_b32 exec_lo, exec_lo, s22
	s_delay_alu instid0(SALU_CYCLE_1)
	s_and_not1_b32 s1, s29, exec_lo
	s_wait_alu 0xfffe
	s_and_b32 s0, s0, exec_lo
	s_wait_alu 0xfffe
	s_or_b32 s22, s1, s0
	s_or_not1_b32 s0, s21, exec_lo
.LBB8_162:
	s_wait_alu 0xfffe
	s_or_b32 exec_lo, exec_lo, s20
	s_and_saveexec_b32 s20, s0
	s_cbranch_execz .LBB8_175
; %bb.163:
	s_mov_b32 s21, 0
	s_mov_b32 s23, s22
	s_mov_b32 s0, exec_lo
	v_cmpx_ne_u32_e32 -1, v44
	s_wait_alu 0xfffe
	s_xor_b32 s19, exec_lo, s0
	s_cbranch_execz .LBB8_172
; %bb.164:
	s_mov_b32 s2, 0
	s_mov_b32 s1, exec_lo
	v_cmpx_lt_i32_e32 0, v42
	s_cbranch_execz .LBB8_169
; %bb.165:
	scratch_load_b64 v[0:1], off, off offset:8
	v_dual_mov_b32 v2, v42 :: v_dual_mov_b32 v3, v44
.LBB8_166:                              ; =>This Inner Loop Header: Depth=1
	s_wait_loadcnt 0x0
	flat_load_b32 v4, v[0:1]
	v_add_nc_u32_e32 v2, -1, v2
	v_add_co_u32 v0, vcc_lo, v0, 4
	s_wait_alu 0xfffd
	v_add_co_ci_u32_e64 v1, null, 0, v1, vcc_lo
	s_delay_alu instid0(VALU_DEP_3)
	v_cmp_eq_u32_e64 s0, 0, v2
	s_wait_alu 0xfffe
	s_or_b32 s2, s0, s2
	s_wait_loadcnt_dscnt 0x0
	scratch_store_b32 v3, v4, off
	v_add_nc_u32_e32 v3, 4, v3
	s_wait_alu 0xfffe
	s_and_not1_b32 exec_lo, exec_lo, s2
	s_cbranch_execnz .LBB8_166
; %bb.167:
	s_or_b32 exec_lo, exec_lo, s2
	v_mov_b32_e32 v0, v42
	s_mov_b32 s0, 20
	s_mov_b32 s2, 0
.LBB8_168:                              ; =>This Inner Loop Header: Depth=1
	scratch_load_b32 v1, v44, off
	v_add_nc_u32_e32 v0, -1, v0
	v_add_nc_u32_e32 v44, 4, v44
	s_delay_alu instid0(VALU_DEP_2)
	v_cmp_eq_u32_e32 vcc_lo, 0, v0
	s_wait_loadcnt 0x0
	scratch_store_b32 off, v1, s0
	s_wait_alu 0xfffe
	s_add_co_i32 s0, s0, 4
	s_or_b32 s2, vcc_lo, s2
	s_wait_alu 0xfffe
	s_and_not1_b32 exec_lo, exec_lo, s2
	s_cbranch_execnz .LBB8_168
.LBB8_169:
	s_wait_alu 0xfffe
	s_or_b32 exec_lo, exec_lo, s1
	scratch_load_b32 v0, off, off offset:16
	s_mov_b32 s0, -1
	s_mov_b32 s1, s22
	s_mov_b32 s2, exec_lo
	s_wait_loadcnt 0x0
	v_cmpx_lt_i32_e64 v0, v42
	s_wait_alu 0xfffe
	s_xor_b32 s21, exec_lo, s2
	s_cbranch_execz .LBB8_171
; %bb.170:
	s_getpc_b64 s[0:1]
	s_wait_alu 0xfffe
	s_sext_i32_i16 s1, s1
	s_add_co_u32 s0, s0, .str.18@rel32@lo+12
	s_wait_alu 0xfffe
	s_add_co_ci_u32 s1, s1, .str.18@rel32@hi+24
	s_getpc_b64 s[2:3]
	s_wait_alu 0xfffe
	s_sext_i32_i16 s3, s3
	s_add_co_u32 s2, s2, .str.19@rel32@lo+12
	s_wait_alu 0xfffe
	s_add_co_ci_u32 s3, s3, .str.19@rel32@hi+24
	s_getpc_b64 s[4:5]
	s_wait_alu 0xfffe
	s_sext_i32_i16 s5, s5
	s_add_co_u32 s4, s4, __PRETTY_FUNCTION__._ZN7VecsMemIjLi8192EE6shrinkEi@rel32@lo+12
	s_wait_alu 0xfffe
	s_add_co_ci_u32 s5, s5, __PRETTY_FUNCTION__._ZN7VecsMemIjLi8192EE6shrinkEi@rel32@hi+24
	v_dual_mov_b32 v0, s0 :: v_dual_mov_b32 v1, s1
	v_dual_mov_b32 v2, s2 :: v_dual_mov_b32 v3, s3
	;; [unrolled: 1-line block ×3, first 2 shown]
	s_wait_alu 0xfffe
	v_mov_b32_e32 v6, s5
	s_getpc_b64 s[6:7]
	s_wait_alu 0xfffe
	s_sext_i32_i16 s7, s7
	s_add_co_u32 s6, s6, __assert_fail@rel32@lo+12
	s_wait_alu 0xfffe
	s_add_co_ci_u32 s7, s7, __assert_fail@rel32@hi+24
	s_mov_b64 s[8:9], s[86:87]
	s_wait_alu 0xfffe
	s_swappc_b64 s[30:31], s[6:7]
	s_or_b32 s1, s22, exec_lo
	s_xor_b32 s0, exec_lo, -1
.LBB8_171:
	s_wait_alu 0xfffe
	s_or_b32 exec_lo, exec_lo, s21
	s_delay_alu instid0(SALU_CYCLE_1)
	s_and_not1_b32 s2, s22, exec_lo
	s_and_b32 s1, s1, exec_lo
	s_and_b32 s21, s0, exec_lo
	s_wait_alu 0xfffe
	s_or_b32 s23, s2, s1
.LBB8_172:
	s_wait_alu 0xfffe
	s_and_not1_saveexec_b32 s19, s19
	s_cbranch_execz .LBB8_174
; %bb.173:
	s_getpc_b64 s[0:1]
	s_wait_alu 0xfffe
	s_sext_i32_i16 s1, s1
	s_add_co_u32 s0, s0, .str.17@rel32@lo+12
	s_wait_alu 0xfffe
	s_add_co_ci_u32 s1, s1, .str.17@rel32@hi+24
	s_getpc_b64 s[2:3]
	s_wait_alu 0xfffe
	s_sext_i32_i16 s3, s3
	s_add_co_u32 s2, s2, .str.16@rel32@lo+12
	s_wait_alu 0xfffe
	s_add_co_ci_u32 s3, s3, .str.16@rel32@hi+24
	s_getpc_b64 s[4:5]
	s_wait_alu 0xfffe
	s_sext_i32_i16 s5, s5
	s_add_co_u32 s4, s4, __PRETTY_FUNCTION__._ZN3sop10minatoIsopEPKjiP7VecsMemIjLi8192EE@rel32@lo+12
	s_wait_alu 0xfffe
	s_add_co_ci_u32 s5, s5, __PRETTY_FUNCTION__._ZN3sop10minatoIsopEPKjiP7VecsMemIjLi8192EE@rel32@hi+24
	v_dual_mov_b32 v0, s0 :: v_dual_mov_b32 v1, s1
	v_dual_mov_b32 v2, s2 :: v_dual_mov_b32 v3, s3
	;; [unrolled: 1-line block ×3, first 2 shown]
	s_wait_alu 0xfffe
	v_mov_b32_e32 v6, s5
	s_getpc_b64 s[6:7]
	s_wait_alu 0xfffe
	s_sext_i32_i16 s7, s7
	s_add_co_u32 s6, s6, __assert_fail@rel32@lo+12
	s_wait_alu 0xfffe
	s_add_co_ci_u32 s7, s7, __assert_fail@rel32@hi+24
	s_mov_b64 s[8:9], s[86:87]
	s_wait_alu 0xfffe
	s_swappc_b64 s[30:31], s[6:7]
	s_or_b32 s23, s23, exec_lo
.LBB8_174:
	s_wait_alu 0xfffe
	s_or_b32 exec_lo, exec_lo, s19
	s_delay_alu instid0(SALU_CYCLE_1)
	s_and_not1_b32 s0, s22, exec_lo
	s_and_b32 s1, s23, exec_lo
	s_and_b32 s19, s21, exec_lo
	s_wait_alu 0xfffe
	s_or_b32 s22, s0, s1
.LBB8_175:
	s_wait_alu 0xfffe
	s_or_b32 exec_lo, exec_lo, s20
	s_delay_alu instid0(SALU_CYCLE_1)
	s_and_not1_b32 s0, s29, exec_lo
	s_and_b32 s1, s22, exec_lo
	s_and_not1_b32 s17, s17, exec_lo
	s_wait_alu 0xfffe
	s_or_b32 s25, s0, s1
	s_and_b32 s0, s19, exec_lo
.LBB8_176:
	s_wait_alu 0xfffe
	s_or_b32 exec_lo, exec_lo, s18
	s_and_saveexec_b32 s1, s17
	s_cbranch_execz .LBB8_178
; %bb.177:
	scratch_load_b32 v0, off, off offset:16
	s_and_not1_b32 s0, s0, exec_lo
	s_mov_b32 s26, exec_lo
	s_wait_loadcnt 0x0
	v_cmp_ge_i32_e32 vcc_lo, v0, v42
	v_mov_b32_e32 v0, 0
	s_and_b32 s2, vcc_lo, exec_lo
	scratch_store_b32 off, v0, off offset:20
	s_wait_alu 0xfffe
	s_or_b32 s0, s0, s2
.LBB8_178:
	s_wait_alu 0xfffe
	s_or_b32 exec_lo, exec_lo, s1
	s_mov_b32 s1, 0
	s_mov_b32 s2, 0
	;; [unrolled: 1-line block ×3, first 2 shown]
	s_and_saveexec_b32 s100, s0
	s_cbranch_execz .LBB8_403
; %bb.179:
	s_mov_b32 s28, s25
	scratch_store_b32 off, v42, off offset:16
	s_wait_storecnt 0x0
	s_barrier_signal -1
	s_barrier_wait -1
	global_inv scope:SCOPE_SE
	s_mov_b32 s0, exec_lo
	v_cmpx_lt_i32_e32 15, v41
	s_wait_alu 0xfffe
	s_xor_b32 s17, exec_lo, s0
	s_cbranch_execz .LBB8_181
; %bb.180:
	s_getpc_b64 s[0:1]
	s_wait_alu 0xfffe
	s_sext_i32_i16 s1, s1
	s_add_co_u32 s0, s0, .str.30@rel32@lo+12
	s_wait_alu 0xfffe
	s_add_co_ci_u32 s1, s1, .str.30@rel32@hi+24
	s_getpc_b64 s[2:3]
	s_wait_alu 0xfffe
	s_sext_i32_i16 s3, s3
	s_add_co_u32 s2, s2, .str.31@rel32@lo+12
	s_wait_alu 0xfffe
	s_add_co_ci_u32 s3, s3, .str.31@rel32@hi+24
	s_getpc_b64 s[4:5]
	s_wait_alu 0xfffe
	s_sext_i32_i16 s5, s5
	s_add_co_u32 s4, s4, __PRETTY_FUNCTION__._ZN3sop9sopFactorEPjiiPKiiP7VecsMemIjLi8192EEPN8subgUtil4SubgILi256EEE@rel32@lo+12
	s_wait_alu 0xfffe
	s_add_co_ci_u32 s5, s5, __PRETTY_FUNCTION__._ZN3sop9sopFactorEPjiiPKiiP7VecsMemIjLi8192EEPN8subgUtil4SubgILi256EEE@rel32@hi+24
	v_dual_mov_b32 v0, s0 :: v_dual_mov_b32 v1, s1
	v_dual_mov_b32 v2, s2 :: v_dual_mov_b32 v3, s3
	;; [unrolled: 1-line block ×3, first 2 shown]
	s_wait_alu 0xfffe
	v_mov_b32_e32 v6, s5
	s_getpc_b64 s[6:7]
	s_wait_alu 0xfffe
	s_sext_i32_i16 s7, s7
	s_add_co_u32 s6, s6, __assert_fail@rel32@lo+12
	s_wait_alu 0xfffe
	s_add_co_ci_u32 s7, s7, __assert_fail@rel32@hi+24
	s_mov_b64 s[8:9], s[86:87]
	s_wait_alu 0xfffe
	s_swappc_b64 s[30:31], s[6:7]
	s_or_b32 s28, s25, exec_lo
                                        ; implicit-def: $vgpr62
                                        ; implicit-def: $vgpr41
                                        ; implicit-def: $vgpr60
                                        ; implicit-def: $vgpr43
.LBB8_181:
	s_wait_alu 0xfffe
	s_or_saveexec_b32 s34, s17
	s_mov_b32 s0, 0
	s_mov_b32 s1, 0
	;; [unrolled: 1-line block ×3, first 2 shown]
	s_wait_alu 0xfffe
	s_xor_b32 exec_lo, exec_lo, s34
	s_cbranch_execz .LBB8_402
; %bb.182:
	scratch_load_b32 v42, off, off offset:16
	s_mov_b32 s35, 0
	s_mov_b32 s82, 0
	s_mov_b32 s1, exec_lo
	scratch_store_b32 off, v41, off offset:32792
	s_wait_loadcnt 0x0
	v_cmpx_lt_i32_e32 0, v42
	s_wait_alu 0xfffe
	s_xor_b32 s1, exec_lo, s1
	s_cbranch_execnz .LBB8_186
; %bb.183:
	s_wait_alu 0xfffe
	s_and_not1_saveexec_b32 s1, s1
	s_cbranch_execnz .LBB8_195
.LBB8_184:
	s_wait_alu 0xfffe
	s_or_b32 exec_lo, exec_lo, s1
	s_mov_b32 s17, s28
	s_and_saveexec_b32 s38, s0
	s_cbranch_execnz .LBB8_196
.LBB8_185:
	s_wait_alu 0xfffe
	s_or_b32 exec_lo, exec_lo, s38
	s_and_saveexec_b32 s0, s35
	s_cbranch_execnz .LBB8_368
	s_branch .LBB8_373
.LBB8_186:
	s_mov_b32 s0, -1
	s_mov_b32 s3, 0
	s_mov_b32 s2, exec_lo
	v_cmpx_eq_u32_e32 1, v42
	s_cbranch_execz .LBB8_194
; %bb.187:
	scratch_load_b32 v0, off, off offset:20
	s_wait_loadcnt 0x0
	v_cmp_eq_u32_e64 s0, 0, v0
	v_cmp_ne_u32_e32 vcc_lo, 0, v0
	s_wait_alu 0xfffe
	s_and_saveexec_b32 s4, s0
	s_wait_alu 0xfffe
	s_xor_b32 s0, exec_lo, s4
	s_cbranch_execz .LBB8_193
; %bb.188:
	v_add_nc_u32_e32 v1, 1, v41
	v_lshl_add_u32 v0, v41, 3, 0x8018
	scratch_store_b32 off, v1, off offset:32792
	s_and_saveexec_b32 s3, s104
	s_wait_alu 0xfffe
	s_xor_b32 s3, exec_lo, s3
	s_cbranch_execz .LBB8_190
; %bb.189:
	v_mov_b32_e32 v1, 0
	s_delay_alu instid0(VALU_DEP_1)
	v_mov_b32_e32 v2, v1
	scratch_store_b64 v0, v[1:2], off offset:8
                                        ; implicit-def: $vgpr0
.LBB8_190:
	s_wait_alu 0xfffe
	s_and_not1_saveexec_b32 s3, s3
	s_cbranch_execz .LBB8_192
; %bb.191:
	v_dual_mov_b32 v1, 3 :: v_dual_mov_b32 v2, 1
	scratch_store_b64 v0, v[1:2], off offset:8
.LBB8_192:
	s_wait_alu 0xfffe
	s_or_b32 exec_lo, exec_lo, s3
	s_delay_alu instid0(SALU_CYCLE_1)
	s_mov_b32 s3, exec_lo
.LBB8_193:
	s_wait_alu 0xfffe
	s_or_b32 exec_lo, exec_lo, s0
	s_delay_alu instid0(SALU_CYCLE_1)
	s_and_b32 s3, s3, exec_lo
	s_or_not1_b32 s0, vcc_lo, exec_lo
.LBB8_194:
	s_wait_alu 0xfffe
	s_or_b32 exec_lo, exec_lo, s2
	s_delay_alu instid0(SALU_CYCLE_1)
	s_and_b32 s82, s3, exec_lo
	s_and_b32 s0, s0, exec_lo
	s_and_not1_saveexec_b32 s1, s1
	s_cbranch_execz .LBB8_184
.LBB8_195:
	v_cmp_ne_u32_e32 vcc_lo, 0, v42
	s_wait_alu 0xfffe
	s_and_not1_b32 s0, s0, exec_lo
	s_mov_b32 s35, exec_lo
	s_and_b32 s2, vcc_lo, exec_lo
	s_wait_alu 0xfffe
	s_or_b32 s0, s0, s2
	s_or_b32 exec_lo, exec_lo, s1
	s_mov_b32 s17, s28
	s_wait_alu 0xfffe
	s_and_saveexec_b32 s38, s0
	s_cbranch_execz .LBB8_185
.LBB8_196:
	v_mov_b32_e32 v0, 0
	v_mov_b32_e32 v44, -1
	s_mov_b32 s0, -1
	s_mov_b32 s102, s28
	s_mov_b32 s17, exec_lo
	scratch_store_b32 off, v0, off offset:4
	v_cmpx_lt_i32_e32 0, v42
	s_cbranch_execz .LBB8_343
; %bb.197:
	v_mov_b32_e32 v44, -1
	s_mov_b32 s18, 0
	s_mov_b32 s0, exec_lo
	v_cmpx_gt_u32_e32 0x1001, v42
	s_wait_alu 0xfffe
	s_xor_b32 s0, exec_lo, s0
	s_cbranch_execz .LBB8_199
; %bb.198:
	v_lshl_add_u32 v0, v42, 3, 16
	v_lshlrev_b32_e32 v1, 2, v42
	s_mov_b32 s18, exec_lo
	s_delay_alu instid0(VALU_DEP_1) | instskip(SKIP_1) | instid1(VALU_DEP_2)
	v_sub_nc_u32_e32 v0, v0, v1
	v_lshlrev_b32_e32 v1, 1, v42
	v_add_nc_u32_e32 v44, 4, v0
	scratch_store_b32 off, v1, off offset:16
.LBB8_199:
	s_wait_alu 0xfffe
	s_or_saveexec_b32 s19, s0
	s_mov_b32 s0, s28
	s_wait_alu 0xfffe
	s_xor_b32 exec_lo, exec_lo, s19
	s_cbranch_execz .LBB8_342
; %bb.200:
	s_load_b64 s[2:3], s[86:87], 0x50
	v_mbcnt_lo_u32_b32 v31, -1, 0
	v_mov_b32_e32 v6, 0
	v_mov_b32_e32 v7, 0
	s_delay_alu instid0(VALU_DEP_3) | instskip(SKIP_1) | instid1(VALU_DEP_1)
	v_readfirstlane_b32 s0, v31
	s_wait_alu 0xf1ff
	v_cmp_eq_u32_e64 s0, s0, v31
	s_and_saveexec_b32 s1, s0
	s_cbranch_execz .LBB8_206
; %bb.201:
	v_mov_b32_e32 v0, 0
	s_mov_b32 s4, exec_lo
	s_wait_kmcnt 0x0
	global_load_b64 v[3:4], v0, s[2:3] offset:24 scope:SCOPE_SYS
	s_wait_loadcnt 0x0
	global_inv scope:SCOPE_SYS
	s_clause 0x1
	global_load_b64 v[1:2], v0, s[2:3] offset:40
	global_load_b64 v[5:6], v0, s[2:3]
	s_wait_loadcnt 0x1
	v_and_b32_e32 v2, v2, v4
	v_and_b32_e32 v1, v1, v3
	s_delay_alu instid0(VALU_DEP_2) | instskip(NEXT) | instid1(VALU_DEP_2)
	v_mul_lo_u32 v2, 24, v2
	v_mul_lo_u32 v7, 0, v1
	v_mul_hi_u32 v8, 24, v1
	v_mul_lo_u32 v1, 24, v1
	s_delay_alu instid0(VALU_DEP_3) | instskip(SKIP_1) | instid1(VALU_DEP_2)
	v_add_nc_u32_e32 v2, v2, v7
	s_wait_loadcnt 0x0
	v_add_co_u32 v1, vcc_lo, v5, v1
	s_delay_alu instid0(VALU_DEP_2) | instskip(SKIP_1) | instid1(VALU_DEP_1)
	v_add_nc_u32_e32 v2, v2, v8
	s_wait_alu 0xfffd
	v_add_co_ci_u32_e64 v2, null, v6, v2, vcc_lo
	global_load_b64 v[1:2], v[1:2], off scope:SCOPE_SYS
	s_wait_loadcnt 0x0
	global_atomic_cmpswap_b64 v[6:7], v0, v[1:4], s[2:3] offset:24 th:TH_ATOMIC_RETURN scope:SCOPE_SYS
	s_wait_loadcnt 0x0
	global_inv scope:SCOPE_SYS
	v_cmpx_ne_u64_e64 v[6:7], v[3:4]
	s_cbranch_execz .LBB8_205
; %bb.202:
	s_mov_b32 s5, 0
.LBB8_203:                              ; =>This Inner Loop Header: Depth=1
	s_sleep 1
	s_clause 0x1
	global_load_b64 v[1:2], v0, s[2:3] offset:40
	global_load_b64 v[8:9], v0, s[2:3]
	v_dual_mov_b32 v3, v6 :: v_dual_mov_b32 v4, v7
	s_wait_loadcnt 0x1
	s_delay_alu instid0(VALU_DEP_1) | instskip(NEXT) | instid1(VALU_DEP_2)
	v_and_b32_e32 v1, v1, v3
	v_and_b32_e32 v2, v2, v4
	s_wait_loadcnt 0x0
	s_delay_alu instid0(VALU_DEP_2) | instskip(NEXT) | instid1(VALU_DEP_1)
	v_mad_co_u64_u32 v[5:6], null, v1, 24, v[8:9]
	v_mov_b32_e32 v1, v6
	s_delay_alu instid0(VALU_DEP_1) | instskip(NEXT) | instid1(VALU_DEP_1)
	v_mad_co_u64_u32 v[1:2], null, v2, 24, v[1:2]
	v_mov_b32_e32 v6, v1
	global_load_b64 v[1:2], v[5:6], off scope:SCOPE_SYS
	s_wait_loadcnt 0x0
	global_atomic_cmpswap_b64 v[6:7], v0, v[1:4], s[2:3] offset:24 th:TH_ATOMIC_RETURN scope:SCOPE_SYS
	s_wait_loadcnt 0x0
	global_inv scope:SCOPE_SYS
	v_cmp_eq_u64_e32 vcc_lo, v[6:7], v[3:4]
	s_wait_alu 0xfffe
	s_or_b32 s5, vcc_lo, s5
	s_wait_alu 0xfffe
	s_and_not1_b32 exec_lo, exec_lo, s5
	s_cbranch_execnz .LBB8_203
; %bb.204:
	s_or_b32 exec_lo, exec_lo, s5
.LBB8_205:
	s_wait_alu 0xfffe
	s_or_b32 exec_lo, exec_lo, s4
.LBB8_206:
	s_wait_alu 0xfffe
	s_or_b32 exec_lo, exec_lo, s1
	v_readfirstlane_b32 s4, v6
	v_mov_b32_e32 v5, 0
	v_readfirstlane_b32 s5, v7
	s_mov_b32 s1, exec_lo
	s_wait_kmcnt 0x0
	s_clause 0x1
	global_load_b64 v[8:9], v5, s[2:3] offset:40
	global_load_b128 v[0:3], v5, s[2:3]
	s_wait_loadcnt 0x1
	s_wait_alu 0xf1ff
	v_and_b32_e32 v11, s5, v9
	v_and_b32_e32 v10, s4, v8
	s_delay_alu instid0(VALU_DEP_2) | instskip(NEXT) | instid1(VALU_DEP_2)
	v_mul_lo_u32 v4, 24, v11
	v_mul_lo_u32 v6, 0, v10
	v_mul_hi_u32 v7, 24, v10
	v_mul_lo_u32 v8, 24, v10
	s_delay_alu instid0(VALU_DEP_3) | instskip(SKIP_1) | instid1(VALU_DEP_2)
	v_add_nc_u32_e32 v4, v4, v6
	s_wait_loadcnt 0x0
	v_add_co_u32 v8, vcc_lo, v0, v8
	s_delay_alu instid0(VALU_DEP_2) | instskip(SKIP_1) | instid1(VALU_DEP_1)
	v_add_nc_u32_e32 v4, v4, v7
	s_wait_alu 0xfffd
	v_add_co_ci_u32_e64 v9, null, v1, v4, vcc_lo
	s_and_saveexec_b32 s6, s0
	s_cbranch_execz .LBB8_208
; %bb.207:
	s_wait_alu 0xfffe
	v_dual_mov_b32 v4, s1 :: v_dual_mov_b32 v7, 1
	v_mov_b32_e32 v6, 2
	global_store_b128 v[8:9], v[4:7], off offset:8
.LBB8_208:
	s_wait_alu 0xfffe
	s_or_b32 exec_lo, exec_lo, s6
	v_lshlrev_b64_e32 v[10:11], 12, v[10:11]
	v_dual_mov_b32 v7, v5 :: v_dual_lshlrev_b32 v30, 6, v31
	s_mov_b32 s8, 0
	s_wait_alu 0xfffe
	s_mov_b32 s11, s8
	s_delay_alu instid0(VALU_DEP_2)
	v_add_co_u32 v2, vcc_lo, v2, v10
	s_wait_alu 0xfffd
	v_add_co_ci_u32_e64 v3, null, v3, v11, vcc_lo
	s_mov_b32 s9, s8
	v_add_co_u32 v10, vcc_lo, v2, v30
	s_mov_b32 s10, s8
	s_wait_alu 0xfffe
	v_dual_mov_b32 v4, 33 :: v_dual_mov_b32 v15, s11
	v_dual_mov_b32 v6, v5 :: v_dual_mov_b32 v13, s9
	v_readfirstlane_b32 s6, v2
	v_readfirstlane_b32 s7, v3
	s_wait_alu 0xfffd
	v_add_co_ci_u32_e64 v11, null, 0, v3, vcc_lo
	v_mov_b32_e32 v14, s10
	v_mov_b32_e32 v12, s8
	s_clause 0x3
	global_store_b128 v30, v[4:7], s[6:7]
	global_store_b128 v30, v[12:15], s[6:7] offset:16
	global_store_b128 v30, v[12:15], s[6:7] offset:32
	;; [unrolled: 1-line block ×3, first 2 shown]
	s_and_saveexec_b32 s1, s0
	s_cbranch_execz .LBB8_216
; %bb.209:
	v_mov_b32_e32 v6, 0
	s_mov_b32 s6, exec_lo
	s_clause 0x1
	global_load_b64 v[14:15], v6, s[2:3] offset:32 scope:SCOPE_SYS
	global_load_b64 v[2:3], v6, s[2:3] offset:40
	v_dual_mov_b32 v13, s5 :: v_dual_mov_b32 v12, s4
	s_wait_loadcnt 0x0
	v_and_b32_e32 v3, s5, v3
	v_and_b32_e32 v2, s4, v2
	s_delay_alu instid0(VALU_DEP_2) | instskip(NEXT) | instid1(VALU_DEP_2)
	v_mul_lo_u32 v3, 24, v3
	v_mul_lo_u32 v4, 0, v2
	v_mul_hi_u32 v5, 24, v2
	v_mul_lo_u32 v2, 24, v2
	s_delay_alu instid0(VALU_DEP_3) | instskip(NEXT) | instid1(VALU_DEP_2)
	v_add_nc_u32_e32 v3, v3, v4
	v_add_co_u32 v4, vcc_lo, v0, v2
	s_delay_alu instid0(VALU_DEP_2) | instskip(SKIP_1) | instid1(VALU_DEP_1)
	v_add_nc_u32_e32 v3, v3, v5
	s_wait_alu 0xfffd
	v_add_co_ci_u32_e64 v5, null, v1, v3, vcc_lo
	global_store_b64 v[4:5], v[14:15], off
	global_wb scope:SCOPE_SYS
	s_wait_storecnt 0x0
	global_atomic_cmpswap_b64 v[2:3], v6, v[12:15], s[2:3] offset:32 th:TH_ATOMIC_RETURN scope:SCOPE_SYS
	s_wait_loadcnt 0x0
	v_cmpx_ne_u64_e64 v[2:3], v[14:15]
	s_cbranch_execz .LBB8_212
; %bb.210:
	s_mov_b32 s7, 0
.LBB8_211:                              ; =>This Inner Loop Header: Depth=1
	v_dual_mov_b32 v0, s4 :: v_dual_mov_b32 v1, s5
	s_sleep 1
	global_store_b64 v[4:5], v[2:3], off
	global_wb scope:SCOPE_SYS
	s_wait_storecnt 0x0
	global_atomic_cmpswap_b64 v[0:1], v6, v[0:3], s[2:3] offset:32 th:TH_ATOMIC_RETURN scope:SCOPE_SYS
	s_wait_loadcnt 0x0
	v_cmp_eq_u64_e32 vcc_lo, v[0:1], v[2:3]
	v_dual_mov_b32 v3, v1 :: v_dual_mov_b32 v2, v0
	s_wait_alu 0xfffe
	s_or_b32 s7, vcc_lo, s7
	s_wait_alu 0xfffe
	s_and_not1_b32 exec_lo, exec_lo, s7
	s_cbranch_execnz .LBB8_211
.LBB8_212:
	s_wait_alu 0xfffe
	s_or_b32 exec_lo, exec_lo, s6
	v_mov_b32_e32 v3, 0
	s_mov_b32 s7, exec_lo
	s_mov_b32 s6, exec_lo
	s_wait_alu 0xfffe
	v_mbcnt_lo_u32_b32 v2, s7, 0
	global_load_b64 v[0:1], v3, s[2:3] offset:16
	v_cmpx_eq_u32_e32 0, v2
	s_cbranch_execz .LBB8_214
; %bb.213:
	s_bcnt1_i32_b32 s7, s7
	s_wait_alu 0xfffe
	v_mov_b32_e32 v2, s7
	global_wb scope:SCOPE_SYS
	s_wait_loadcnt 0x0
	s_wait_storecnt 0x0
	global_atomic_add_u64 v[0:1], v[2:3], off offset:8 scope:SCOPE_SYS
.LBB8_214:
	s_or_b32 exec_lo, exec_lo, s6
	s_wait_loadcnt 0x0
	global_load_b64 v[2:3], v[0:1], off offset:16
	s_wait_loadcnt 0x0
	v_cmp_eq_u64_e32 vcc_lo, 0, v[2:3]
	s_cbranch_vccnz .LBB8_216
; %bb.215:
	global_load_b32 v0, v[0:1], off offset:24
	v_mov_b32_e32 v1, 0
	s_wait_loadcnt 0x0
	v_readfirstlane_b32 s6, v0
	global_wb scope:SCOPE_SYS
	s_wait_storecnt 0x0
	global_store_b64 v[2:3], v[0:1], off scope:SCOPE_SYS
	s_and_b32 m0, s6, 0xffffff
	s_sendmsg sendmsg(MSG_INTERRUPT)
.LBB8_216:
	s_wait_alu 0xfffe
	s_or_b32 exec_lo, exec_lo, s1
	s_branch .LBB8_220
.LBB8_217:                              ;   in Loop: Header=BB8_220 Depth=1
	s_wait_alu 0xfffe
	s_or_b32 exec_lo, exec_lo, s1
	s_delay_alu instid0(VALU_DEP_1)
	v_readfirstlane_b32 s1, v0
	s_cmp_eq_u32 s1, 0
	s_cbranch_scc1 .LBB8_219
; %bb.218:                              ;   in Loop: Header=BB8_220 Depth=1
	s_sleep 1
	s_cbranch_execnz .LBB8_220
	s_branch .LBB8_222
.LBB8_219:
	s_branch .LBB8_222
.LBB8_220:                              ; =>This Inner Loop Header: Depth=1
	v_mov_b32_e32 v0, 1
	s_and_saveexec_b32 s1, s0
	s_cbranch_execz .LBB8_217
; %bb.221:                              ;   in Loop: Header=BB8_220 Depth=1
	global_load_b32 v0, v[8:9], off offset:20 scope:SCOPE_SYS
	s_wait_loadcnt 0x0
	global_inv scope:SCOPE_SYS
	v_and_b32_e32 v0, 1, v0
	s_branch .LBB8_217
.LBB8_222:
	global_load_b64 v[0:1], v[10:11], off
	s_and_saveexec_b32 s6, s0
	s_cbranch_execz .LBB8_226
; %bb.223:
	v_mov_b32_e32 v8, 0
	s_clause 0x2
	global_load_b64 v[2:3], v8, s[2:3] offset:40
	global_load_b64 v[11:12], v8, s[2:3] offset:24 scope:SCOPE_SYS
	global_load_b64 v[4:5], v8, s[2:3]
	s_wait_loadcnt 0x2
	v_readfirstlane_b32 s8, v2
	v_readfirstlane_b32 s9, v3
	s_add_nc_u64 s[0:1], s[8:9], 1
	s_wait_alu 0xfffe
	s_add_nc_u64 s[4:5], s[0:1], s[4:5]
	s_wait_alu 0xfffe
	s_cmp_eq_u64 s[4:5], 0
	s_cselect_b32 s1, s1, s5
	s_cselect_b32 s0, s0, s4
	s_wait_alu 0xfffe
	v_mov_b32_e32 v10, s1
	s_and_b64 s[4:5], s[0:1], s[8:9]
	v_mov_b32_e32 v9, s0
	s_wait_alu 0xfffe
	s_mul_u64 s[4:5], s[4:5], 24
	s_wait_loadcnt 0x0
	s_wait_alu 0xfffe
	v_add_co_u32 v6, vcc_lo, v4, s4
	s_wait_alu 0xfffd
	v_add_co_ci_u32_e64 v7, null, s5, v5, vcc_lo
	global_store_b64 v[6:7], v[11:12], off
	global_wb scope:SCOPE_SYS
	s_wait_storecnt 0x0
	global_atomic_cmpswap_b64 v[4:5], v8, v[9:12], s[2:3] offset:24 th:TH_ATOMIC_RETURN scope:SCOPE_SYS
	s_wait_loadcnt 0x0
	v_cmp_ne_u64_e32 vcc_lo, v[4:5], v[11:12]
	s_and_b32 exec_lo, exec_lo, vcc_lo
	s_cbranch_execz .LBB8_226
; %bb.224:
	s_mov_b32 s4, 0
.LBB8_225:                              ; =>This Inner Loop Header: Depth=1
	v_dual_mov_b32 v2, s0 :: v_dual_mov_b32 v3, s1
	s_sleep 1
	global_store_b64 v[6:7], v[4:5], off
	global_wb scope:SCOPE_SYS
	s_wait_storecnt 0x0
	global_atomic_cmpswap_b64 v[2:3], v8, v[2:5], s[2:3] offset:24 th:TH_ATOMIC_RETURN scope:SCOPE_SYS
	s_wait_loadcnt 0x0
	v_cmp_eq_u64_e32 vcc_lo, v[2:3], v[4:5]
	v_dual_mov_b32 v5, v3 :: v_dual_mov_b32 v4, v2
	s_wait_alu 0xfffe
	s_or_b32 s4, vcc_lo, s4
	s_wait_alu 0xfffe
	s_and_not1_b32 exec_lo, exec_lo, s4
	s_cbranch_execnz .LBB8_225
.LBB8_226:
	s_wait_alu 0xfffe
	s_or_b32 exec_lo, exec_lo, s6
	s_getpc_b64 s[4:5]
	s_wait_alu 0xfffe
	s_sext_i32_i16 s5, s5
	s_add_co_u32 s4, s4, .str.28@rel32@lo+12
	s_wait_alu 0xfffe
	s_add_co_ci_u32 s5, s5, .str.28@rel32@hi+24
	s_wait_alu 0xfffe
	s_cmp_lg_u64 s[4:5], 0
	s_cbranch_scc0 .LBB8_312
; %bb.227:
	s_wait_loadcnt 0x0
	v_dual_mov_b32 v7, v1 :: v_dual_and_b32 v6, -3, v0
	v_dual_mov_b32 v3, 0 :: v_dual_mov_b32 v4, 2
	v_mov_b32_e32 v5, 1
	s_mov_b64 s[6:7], 35
	s_branch .LBB8_229
.LBB8_228:                              ;   in Loop: Header=BB8_229 Depth=1
	s_wait_alu 0xfffe
	s_or_b32 exec_lo, exec_lo, s12
	s_sub_nc_u64 s[6:7], s[6:7], s[8:9]
	s_add_nc_u64 s[4:5], s[4:5], s[8:9]
	s_wait_alu 0xfffe
	s_cmp_lg_u64 s[6:7], 0
	s_cbranch_scc0 .LBB8_311
.LBB8_229:                              ; =>This Loop Header: Depth=1
                                        ;     Child Loop BB8_232 Depth 2
                                        ;     Child Loop BB8_240 Depth 2
	;; [unrolled: 1-line block ×11, first 2 shown]
	s_wait_alu 0xfffe
	v_cmp_lt_u64_e64 s0, s[6:7], 56
	v_cmp_gt_u64_e64 s1, s[6:7], 7
	s_and_b32 s0, s0, exec_lo
	s_cselect_b32 s9, s7, 0
	s_cselect_b32 s8, s6, 56
	s_and_b32 vcc_lo, exec_lo, s1
	s_wait_alu 0xfffe
	s_cbranch_vccnz .LBB8_234
; %bb.230:                              ;   in Loop: Header=BB8_229 Depth=1
	s_wait_loadcnt 0x0
	v_mov_b32_e32 v8, 0
	v_mov_b32_e32 v9, 0
	s_cmp_eq_u64 s[6:7], 0
	s_cbranch_scc1 .LBB8_233
; %bb.231:                              ;   in Loop: Header=BB8_229 Depth=1
	s_mov_b64 s[0:1], 0
	s_mov_b64 s[10:11], 0
.LBB8_232:                              ;   Parent Loop BB8_229 Depth=1
                                        ; =>  This Inner Loop Header: Depth=2
	s_wait_alu 0xfffe
	s_add_nc_u64 s[12:13], s[4:5], s[10:11]
	s_add_nc_u64 s[10:11], s[10:11], 1
	global_load_u8 v2, v3, s[12:13]
	s_wait_alu 0xfffe
	s_cmp_lg_u32 s8, s10
	s_wait_loadcnt 0x0
	v_and_b32_e32 v2, 0xffff, v2
	s_delay_alu instid0(VALU_DEP_1) | instskip(SKIP_1) | instid1(VALU_DEP_1)
	v_lshlrev_b64_e32 v[10:11], s0, v[2:3]
	s_add_nc_u64 s[0:1], s[0:1], 8
	v_or_b32_e32 v8, v10, v8
	s_delay_alu instid0(VALU_DEP_2)
	v_or_b32_e32 v9, v11, v9
	s_cbranch_scc1 .LBB8_232
.LBB8_233:                              ;   in Loop: Header=BB8_229 Depth=1
	s_mov_b32 s0, 0
	s_mov_b64 s[10:11], s[4:5]
	s_branch .LBB8_235
.LBB8_234:                              ;   in Loop: Header=BB8_229 Depth=1
	s_add_nc_u64 s[10:11], s[4:5], 8
	s_mov_b32 s0, -1
.LBB8_235:                              ;   in Loop: Header=BB8_229 Depth=1
	s_wait_alu 0xfffe
	s_and_not1_b32 vcc_lo, exec_lo, s0
	s_mov_b32 s14, 0
	s_wait_alu 0xfffe
	s_cbranch_vccnz .LBB8_237
; %bb.236:                              ;   in Loop: Header=BB8_229 Depth=1
	s_wait_loadcnt 0x0
	global_load_b64 v[8:9], v3, s[4:5]
	s_add_co_i32 s14, s8, -8
.LBB8_237:                              ;   in Loop: Header=BB8_229 Depth=1
	s_wait_alu 0xfffe
	s_cmp_gt_u32 s14, 7
	s_cbranch_scc1 .LBB8_242
; %bb.238:                              ;   in Loop: Header=BB8_229 Depth=1
	v_mov_b32_e32 v10, 0
	v_mov_b32_e32 v11, 0
	s_cmp_eq_u32 s14, 0
	s_cbranch_scc1 .LBB8_241
; %bb.239:                              ;   in Loop: Header=BB8_229 Depth=1
	s_mov_b64 s[0:1], 0
	s_mov_b64 s[12:13], 0
.LBB8_240:                              ;   Parent Loop BB8_229 Depth=1
                                        ; =>  This Inner Loop Header: Depth=2
	s_wait_alu 0xfffe
	s_add_nc_u64 s[20:21], s[10:11], s[12:13]
	s_add_nc_u64 s[12:13], s[12:13], 1
	global_load_u8 v2, v3, s[20:21]
	s_wait_alu 0xfffe
	s_cmp_lg_u32 s14, s12
	s_wait_loadcnt 0x0
	v_and_b32_e32 v2, 0xffff, v2
	s_delay_alu instid0(VALU_DEP_1) | instskip(SKIP_1) | instid1(VALU_DEP_1)
	v_lshlrev_b64_e32 v[12:13], s0, v[2:3]
	s_add_nc_u64 s[0:1], s[0:1], 8
	v_or_b32_e32 v10, v12, v10
	s_delay_alu instid0(VALU_DEP_2)
	v_or_b32_e32 v11, v13, v11
	s_cbranch_scc1 .LBB8_240
.LBB8_241:                              ;   in Loop: Header=BB8_229 Depth=1
	s_mov_b32 s12, 0
	s_mov_b64 s[0:1], s[10:11]
	s_branch .LBB8_243
.LBB8_242:                              ;   in Loop: Header=BB8_229 Depth=1
	s_add_nc_u64 s[0:1], s[10:11], 8
	s_mov_b32 s12, -1
                                        ; implicit-def: $vgpr10_vgpr11
.LBB8_243:                              ;   in Loop: Header=BB8_229 Depth=1
	s_wait_alu 0xfffe
	s_and_not1_b32 vcc_lo, exec_lo, s12
	s_mov_b32 s15, 0
	s_wait_alu 0xfffe
	s_cbranch_vccnz .LBB8_245
; %bb.244:                              ;   in Loop: Header=BB8_229 Depth=1
	global_load_b64 v[10:11], v3, s[10:11]
	s_add_co_i32 s15, s14, -8
.LBB8_245:                              ;   in Loop: Header=BB8_229 Depth=1
	s_wait_alu 0xfffe
	s_cmp_gt_u32 s15, 7
	s_cbranch_scc1 .LBB8_250
; %bb.246:                              ;   in Loop: Header=BB8_229 Depth=1
	v_mov_b32_e32 v12, 0
	v_mov_b32_e32 v13, 0
	s_cmp_eq_u32 s15, 0
	s_cbranch_scc1 .LBB8_249
; %bb.247:                              ;   in Loop: Header=BB8_229 Depth=1
	s_mov_b64 s[10:11], 0
	s_mov_b64 s[12:13], 0
.LBB8_248:                              ;   Parent Loop BB8_229 Depth=1
                                        ; =>  This Inner Loop Header: Depth=2
	s_wait_alu 0xfffe
	s_add_nc_u64 s[20:21], s[0:1], s[12:13]
	s_add_nc_u64 s[12:13], s[12:13], 1
	global_load_u8 v2, v3, s[20:21]
	s_wait_alu 0xfffe
	s_cmp_lg_u32 s15, s12
	s_wait_loadcnt 0x0
	v_and_b32_e32 v2, 0xffff, v2
	s_delay_alu instid0(VALU_DEP_1) | instskip(SKIP_1) | instid1(VALU_DEP_1)
	v_lshlrev_b64_e32 v[14:15], s10, v[2:3]
	s_add_nc_u64 s[10:11], s[10:11], 8
	v_or_b32_e32 v12, v14, v12
	s_delay_alu instid0(VALU_DEP_2)
	v_or_b32_e32 v13, v15, v13
	s_cbranch_scc1 .LBB8_248
.LBB8_249:                              ;   in Loop: Header=BB8_229 Depth=1
	s_mov_b32 s12, 0
	s_mov_b64 s[10:11], s[0:1]
	s_branch .LBB8_251
.LBB8_250:                              ;   in Loop: Header=BB8_229 Depth=1
	s_add_nc_u64 s[10:11], s[0:1], 8
	s_mov_b32 s12, -1
.LBB8_251:                              ;   in Loop: Header=BB8_229 Depth=1
	s_wait_alu 0xfffe
	s_and_not1_b32 vcc_lo, exec_lo, s12
	s_mov_b32 s14, 0
	s_wait_alu 0xfffe
	s_cbranch_vccnz .LBB8_253
; %bb.252:                              ;   in Loop: Header=BB8_229 Depth=1
	global_load_b64 v[12:13], v3, s[0:1]
	s_add_co_i32 s14, s15, -8
.LBB8_253:                              ;   in Loop: Header=BB8_229 Depth=1
	s_wait_alu 0xfffe
	s_cmp_gt_u32 s14, 7
	s_cbranch_scc1 .LBB8_258
; %bb.254:                              ;   in Loop: Header=BB8_229 Depth=1
	v_mov_b32_e32 v14, 0
	v_mov_b32_e32 v15, 0
	s_cmp_eq_u32 s14, 0
	s_cbranch_scc1 .LBB8_257
; %bb.255:                              ;   in Loop: Header=BB8_229 Depth=1
	s_mov_b64 s[0:1], 0
	s_mov_b64 s[12:13], 0
.LBB8_256:                              ;   Parent Loop BB8_229 Depth=1
                                        ; =>  This Inner Loop Header: Depth=2
	s_wait_alu 0xfffe
	s_add_nc_u64 s[20:21], s[10:11], s[12:13]
	s_add_nc_u64 s[12:13], s[12:13], 1
	global_load_u8 v2, v3, s[20:21]
	s_wait_alu 0xfffe
	s_cmp_lg_u32 s14, s12
	s_wait_loadcnt 0x0
	v_and_b32_e32 v2, 0xffff, v2
	s_delay_alu instid0(VALU_DEP_1) | instskip(SKIP_1) | instid1(VALU_DEP_1)
	v_lshlrev_b64_e32 v[16:17], s0, v[2:3]
	s_add_nc_u64 s[0:1], s[0:1], 8
	v_or_b32_e32 v14, v16, v14
	s_delay_alu instid0(VALU_DEP_2)
	v_or_b32_e32 v15, v17, v15
	s_cbranch_scc1 .LBB8_256
.LBB8_257:                              ;   in Loop: Header=BB8_229 Depth=1
	s_mov_b32 s12, 0
	s_mov_b64 s[0:1], s[10:11]
	s_branch .LBB8_259
.LBB8_258:                              ;   in Loop: Header=BB8_229 Depth=1
	s_add_nc_u64 s[0:1], s[10:11], 8
	s_mov_b32 s12, -1
                                        ; implicit-def: $vgpr14_vgpr15
.LBB8_259:                              ;   in Loop: Header=BB8_229 Depth=1
	s_wait_alu 0xfffe
	s_and_not1_b32 vcc_lo, exec_lo, s12
	s_mov_b32 s15, 0
	s_wait_alu 0xfffe
	s_cbranch_vccnz .LBB8_261
; %bb.260:                              ;   in Loop: Header=BB8_229 Depth=1
	global_load_b64 v[14:15], v3, s[10:11]
	s_add_co_i32 s15, s14, -8
.LBB8_261:                              ;   in Loop: Header=BB8_229 Depth=1
	s_wait_alu 0xfffe
	s_cmp_gt_u32 s15, 7
	s_cbranch_scc1 .LBB8_266
; %bb.262:                              ;   in Loop: Header=BB8_229 Depth=1
	v_mov_b32_e32 v16, 0
	v_mov_b32_e32 v17, 0
	s_cmp_eq_u32 s15, 0
	s_cbranch_scc1 .LBB8_265
; %bb.263:                              ;   in Loop: Header=BB8_229 Depth=1
	s_mov_b64 s[10:11], 0
	s_mov_b64 s[12:13], 0
.LBB8_264:                              ;   Parent Loop BB8_229 Depth=1
                                        ; =>  This Inner Loop Header: Depth=2
	s_wait_alu 0xfffe
	s_add_nc_u64 s[20:21], s[0:1], s[12:13]
	s_add_nc_u64 s[12:13], s[12:13], 1
	global_load_u8 v2, v3, s[20:21]
	s_wait_alu 0xfffe
	s_cmp_lg_u32 s15, s12
	s_wait_loadcnt 0x0
	v_and_b32_e32 v2, 0xffff, v2
	s_delay_alu instid0(VALU_DEP_1) | instskip(SKIP_1) | instid1(VALU_DEP_1)
	v_lshlrev_b64_e32 v[18:19], s10, v[2:3]
	s_add_nc_u64 s[10:11], s[10:11], 8
	v_or_b32_e32 v16, v18, v16
	s_delay_alu instid0(VALU_DEP_2)
	v_or_b32_e32 v17, v19, v17
	s_cbranch_scc1 .LBB8_264
.LBB8_265:                              ;   in Loop: Header=BB8_229 Depth=1
	s_mov_b32 s12, 0
	s_mov_b64 s[10:11], s[0:1]
	s_branch .LBB8_267
.LBB8_266:                              ;   in Loop: Header=BB8_229 Depth=1
	s_add_nc_u64 s[10:11], s[0:1], 8
	s_mov_b32 s12, -1
.LBB8_267:                              ;   in Loop: Header=BB8_229 Depth=1
	s_wait_alu 0xfffe
	s_and_not1_b32 vcc_lo, exec_lo, s12
	s_mov_b32 s14, 0
	s_wait_alu 0xfffe
	s_cbranch_vccnz .LBB8_269
; %bb.268:                              ;   in Loop: Header=BB8_229 Depth=1
	global_load_b64 v[16:17], v3, s[0:1]
	s_add_co_i32 s14, s15, -8
.LBB8_269:                              ;   in Loop: Header=BB8_229 Depth=1
	s_wait_alu 0xfffe
	s_cmp_gt_u32 s14, 7
	s_cbranch_scc1 .LBB8_274
; %bb.270:                              ;   in Loop: Header=BB8_229 Depth=1
	v_mov_b32_e32 v18, 0
	v_mov_b32_e32 v19, 0
	s_cmp_eq_u32 s14, 0
	s_cbranch_scc1 .LBB8_273
; %bb.271:                              ;   in Loop: Header=BB8_229 Depth=1
	s_mov_b64 s[0:1], 0
	s_mov_b64 s[12:13], 0
.LBB8_272:                              ;   Parent Loop BB8_229 Depth=1
                                        ; =>  This Inner Loop Header: Depth=2
	s_wait_alu 0xfffe
	s_add_nc_u64 s[20:21], s[10:11], s[12:13]
	s_add_nc_u64 s[12:13], s[12:13], 1
	global_load_u8 v2, v3, s[20:21]
	s_wait_alu 0xfffe
	s_cmp_lg_u32 s14, s12
	s_wait_loadcnt 0x0
	v_and_b32_e32 v2, 0xffff, v2
	s_delay_alu instid0(VALU_DEP_1) | instskip(SKIP_1) | instid1(VALU_DEP_1)
	v_lshlrev_b64_e32 v[20:21], s0, v[2:3]
	s_add_nc_u64 s[0:1], s[0:1], 8
	v_or_b32_e32 v18, v20, v18
	s_delay_alu instid0(VALU_DEP_2)
	v_or_b32_e32 v19, v21, v19
	s_cbranch_scc1 .LBB8_272
.LBB8_273:                              ;   in Loop: Header=BB8_229 Depth=1
	s_mov_b32 s12, 0
	s_mov_b64 s[0:1], s[10:11]
	s_branch .LBB8_275
.LBB8_274:                              ;   in Loop: Header=BB8_229 Depth=1
	s_add_nc_u64 s[0:1], s[10:11], 8
	s_mov_b32 s12, -1
                                        ; implicit-def: $vgpr18_vgpr19
.LBB8_275:                              ;   in Loop: Header=BB8_229 Depth=1
	s_wait_alu 0xfffe
	s_and_not1_b32 vcc_lo, exec_lo, s12
	s_mov_b32 s15, 0
	s_wait_alu 0xfffe
	s_cbranch_vccnz .LBB8_277
; %bb.276:                              ;   in Loop: Header=BB8_229 Depth=1
	global_load_b64 v[18:19], v3, s[10:11]
	s_add_co_i32 s15, s14, -8
.LBB8_277:                              ;   in Loop: Header=BB8_229 Depth=1
	s_wait_alu 0xfffe
	s_cmp_gt_u32 s15, 7
	s_cbranch_scc1 .LBB8_282
; %bb.278:                              ;   in Loop: Header=BB8_229 Depth=1
	v_mov_b32_e32 v20, 0
	v_mov_b32_e32 v21, 0
	s_cmp_eq_u32 s15, 0
	s_cbranch_scc1 .LBB8_281
; %bb.279:                              ;   in Loop: Header=BB8_229 Depth=1
	s_mov_b64 s[10:11], 0
	s_mov_b64 s[12:13], s[0:1]
.LBB8_280:                              ;   Parent Loop BB8_229 Depth=1
                                        ; =>  This Inner Loop Header: Depth=2
	global_load_u8 v2, v3, s[12:13]
	s_add_co_i32 s15, s15, -1
	s_wait_alu 0xfffe
	s_add_nc_u64 s[12:13], s[12:13], 1
	s_cmp_lg_u32 s15, 0
	s_wait_loadcnt 0x0
	v_and_b32_e32 v2, 0xffff, v2
	s_delay_alu instid0(VALU_DEP_1) | instskip(SKIP_1) | instid1(VALU_DEP_1)
	v_lshlrev_b64_e32 v[22:23], s10, v[2:3]
	s_add_nc_u64 s[10:11], s[10:11], 8
	v_or_b32_e32 v20, v22, v20
	s_delay_alu instid0(VALU_DEP_2)
	v_or_b32_e32 v21, v23, v21
	s_cbranch_scc1 .LBB8_280
.LBB8_281:                              ;   in Loop: Header=BB8_229 Depth=1
	s_mov_b32 s10, 0
	s_branch .LBB8_283
.LBB8_282:                              ;   in Loop: Header=BB8_229 Depth=1
	s_mov_b32 s10, -1
.LBB8_283:                              ;   in Loop: Header=BB8_229 Depth=1
	s_wait_alu 0xfffe
	s_and_not1_b32 vcc_lo, exec_lo, s10
	s_wait_alu 0xfffe
	s_cbranch_vccnz .LBB8_285
; %bb.284:                              ;   in Loop: Header=BB8_229 Depth=1
	global_load_b64 v[20:21], v3, s[0:1]
.LBB8_285:                              ;   in Loop: Header=BB8_229 Depth=1
	v_readfirstlane_b32 s0, v31
	v_mov_b32_e32 v26, 0
	v_mov_b32_e32 v27, 0
	s_wait_alu 0xf1ff
	s_delay_alu instid0(VALU_DEP_3)
	v_cmp_eq_u32_e64 s0, s0, v31
	s_and_saveexec_b32 s1, s0
	s_cbranch_execz .LBB8_291
; %bb.286:                              ;   in Loop: Header=BB8_229 Depth=1
	global_load_b64 v[24:25], v3, s[2:3] offset:24 scope:SCOPE_SYS
	s_wait_loadcnt 0x0
	global_inv scope:SCOPE_SYS
	s_clause 0x1
	global_load_b64 v[22:23], v3, s[2:3] offset:40
	global_load_b64 v[26:27], v3, s[2:3]
	s_mov_b32 s10, exec_lo
	s_wait_loadcnt 0x1
	v_and_b32_e32 v2, v23, v25
	v_and_b32_e32 v22, v22, v24
	s_delay_alu instid0(VALU_DEP_2) | instskip(NEXT) | instid1(VALU_DEP_2)
	v_mul_lo_u32 v2, 24, v2
	v_mul_lo_u32 v23, 0, v22
	v_mul_hi_u32 v28, 24, v22
	v_mul_lo_u32 v22, 24, v22
	s_delay_alu instid0(VALU_DEP_3) | instskip(SKIP_1) | instid1(VALU_DEP_2)
	v_add_nc_u32_e32 v2, v2, v23
	s_wait_loadcnt 0x0
	v_add_co_u32 v22, vcc_lo, v26, v22
	s_delay_alu instid0(VALU_DEP_2) | instskip(SKIP_1) | instid1(VALU_DEP_1)
	v_add_nc_u32_e32 v2, v2, v28
	s_wait_alu 0xfffd
	v_add_co_ci_u32_e64 v23, null, v27, v2, vcc_lo
	global_load_b64 v[22:23], v[22:23], off scope:SCOPE_SYS
	s_wait_loadcnt 0x0
	global_atomic_cmpswap_b64 v[26:27], v3, v[22:25], s[2:3] offset:24 th:TH_ATOMIC_RETURN scope:SCOPE_SYS
	s_wait_loadcnt 0x0
	global_inv scope:SCOPE_SYS
	v_cmpx_ne_u64_e64 v[26:27], v[24:25]
	s_cbranch_execz .LBB8_290
; %bb.287:                              ;   in Loop: Header=BB8_229 Depth=1
	s_mov_b32 s11, 0
.LBB8_288:                              ;   Parent Loop BB8_229 Depth=1
                                        ; =>  This Inner Loop Header: Depth=2
	s_sleep 1
	s_clause 0x1
	global_load_b64 v[22:23], v3, s[2:3] offset:40
	global_load_b64 v[28:29], v3, s[2:3]
	v_dual_mov_b32 v24, v26 :: v_dual_mov_b32 v25, v27
	s_wait_loadcnt 0x1
	s_delay_alu instid0(VALU_DEP_1) | instskip(NEXT) | instid1(VALU_DEP_2)
	v_and_b32_e32 v2, v22, v24
	v_and_b32_e32 v22, v23, v25
	s_wait_loadcnt 0x0
	s_delay_alu instid0(VALU_DEP_2) | instskip(NEXT) | instid1(VALU_DEP_1)
	v_mad_co_u64_u32 v[26:27], null, v2, 24, v[28:29]
	v_mov_b32_e32 v2, v27
	s_delay_alu instid0(VALU_DEP_1) | instskip(NEXT) | instid1(VALU_DEP_1)
	v_mad_co_u64_u32 v[22:23], null, v22, 24, v[2:3]
	v_mov_b32_e32 v27, v22
	global_load_b64 v[22:23], v[26:27], off scope:SCOPE_SYS
	s_wait_loadcnt 0x0
	global_atomic_cmpswap_b64 v[26:27], v3, v[22:25], s[2:3] offset:24 th:TH_ATOMIC_RETURN scope:SCOPE_SYS
	s_wait_loadcnt 0x0
	global_inv scope:SCOPE_SYS
	v_cmp_eq_u64_e32 vcc_lo, v[26:27], v[24:25]
	s_wait_alu 0xfffe
	s_or_b32 s11, vcc_lo, s11
	s_wait_alu 0xfffe
	s_and_not1_b32 exec_lo, exec_lo, s11
	s_cbranch_execnz .LBB8_288
; %bb.289:                              ;   in Loop: Header=BB8_229 Depth=1
	s_or_b32 exec_lo, exec_lo, s11
.LBB8_290:                              ;   in Loop: Header=BB8_229 Depth=1
	s_wait_alu 0xfffe
	s_or_b32 exec_lo, exec_lo, s10
.LBB8_291:                              ;   in Loop: Header=BB8_229 Depth=1
	s_wait_alu 0xfffe
	s_or_b32 exec_lo, exec_lo, s1
	s_clause 0x1
	global_load_b64 v[28:29], v3, s[2:3] offset:40
	global_load_b128 v[22:25], v3, s[2:3]
	v_readfirstlane_b32 s11, v27
	v_readfirstlane_b32 s10, v26
	s_mov_b32 s1, exec_lo
	s_wait_loadcnt 0x1
	s_wait_alu 0xf1ff
	v_and_b32_e32 v29, s11, v29
	v_and_b32_e32 v28, s10, v28
	s_delay_alu instid0(VALU_DEP_2) | instskip(NEXT) | instid1(VALU_DEP_2)
	v_mul_lo_u32 v2, 24, v29
	v_mul_lo_u32 v26, 0, v28
	v_mul_hi_u32 v27, 24, v28
	v_mul_lo_u32 v32, 24, v28
	s_delay_alu instid0(VALU_DEP_3) | instskip(SKIP_1) | instid1(VALU_DEP_2)
	v_add_nc_u32_e32 v2, v2, v26
	s_wait_loadcnt 0x0
	v_add_co_u32 v26, vcc_lo, v22, v32
	s_delay_alu instid0(VALU_DEP_2) | instskip(SKIP_1) | instid1(VALU_DEP_1)
	v_add_nc_u32_e32 v2, v2, v27
	s_wait_alu 0xfffd
	v_add_co_ci_u32_e64 v27, null, v23, v2, vcc_lo
	s_and_saveexec_b32 s12, s0
	s_cbranch_execz .LBB8_293
; %bb.292:                              ;   in Loop: Header=BB8_229 Depth=1
	s_wait_alu 0xfffe
	v_mov_b32_e32 v2, s1
	global_store_b128 v[26:27], v[2:5], off offset:8
.LBB8_293:                              ;   in Loop: Header=BB8_229 Depth=1
	s_wait_alu 0xfffe
	s_or_b32 exec_lo, exec_lo, s12
	v_cmp_gt_u64_e64 s1, s[6:7], 56
	v_lshlrev_b64_e32 v[28:29], 12, v[28:29]
	v_and_b32_e32 v2, 0xffffff1f, v6
	s_and_b32 s1, s1, exec_lo
	s_delay_alu instid0(VALU_DEP_2)
	v_add_co_u32 v24, vcc_lo, v24, v28
	s_cselect_b32 s1, 0, 2
	s_wait_alu 0xfffd
	v_add_co_ci_u32_e64 v25, null, v25, v29, vcc_lo
	s_wait_alu 0xfffe
	v_or_b32_e32 v2, s1, v2
	s_lshl_b32 s12, s8, 2
	s_wait_alu 0xfffe
	s_add_co_i32 s1, s12, 28
	v_readfirstlane_b32 s12, v24
	v_readfirstlane_b32 s13, v25
	s_wait_alu 0xfffe
	v_and_or_b32 v6, 0x1e0, s1, v2
	s_clause 0x3
	global_store_b128 v30, v[6:9], s[12:13]
	global_store_b128 v30, v[10:13], s[12:13] offset:16
	global_store_b128 v30, v[14:17], s[12:13] offset:32
	;; [unrolled: 1-line block ×3, first 2 shown]
	s_and_saveexec_b32 s1, s0
	s_cbranch_execz .LBB8_301
; %bb.294:                              ;   in Loop: Header=BB8_229 Depth=1
	s_clause 0x1
	global_load_b64 v[14:15], v3, s[2:3] offset:32 scope:SCOPE_SYS
	global_load_b64 v[6:7], v3, s[2:3] offset:40
	v_mov_b32_e32 v12, s10
	s_mov_b32 s12, exec_lo
	s_wait_loadcnt 0x0
	v_dual_mov_b32 v13, s11 :: v_dual_and_b32 v2, s11, v7
	v_and_b32_e32 v6, s10, v6
	s_delay_alu instid0(VALU_DEP_2) | instskip(NEXT) | instid1(VALU_DEP_2)
	v_mul_lo_u32 v2, 24, v2
	v_mul_lo_u32 v7, 0, v6
	v_mul_hi_u32 v8, 24, v6
	v_mul_lo_u32 v6, 24, v6
	s_delay_alu instid0(VALU_DEP_3) | instskip(NEXT) | instid1(VALU_DEP_2)
	v_add_nc_u32_e32 v2, v2, v7
	v_add_co_u32 v10, vcc_lo, v22, v6
	s_delay_alu instid0(VALU_DEP_2) | instskip(SKIP_1) | instid1(VALU_DEP_1)
	v_add_nc_u32_e32 v2, v2, v8
	s_wait_alu 0xfffd
	v_add_co_ci_u32_e64 v11, null, v23, v2, vcc_lo
	global_store_b64 v[10:11], v[14:15], off
	global_wb scope:SCOPE_SYS
	s_wait_storecnt 0x0
	global_atomic_cmpswap_b64 v[8:9], v3, v[12:15], s[2:3] offset:32 th:TH_ATOMIC_RETURN scope:SCOPE_SYS
	s_wait_loadcnt 0x0
	v_cmpx_ne_u64_e64 v[8:9], v[14:15]
	s_cbranch_execz .LBB8_297
; %bb.295:                              ;   in Loop: Header=BB8_229 Depth=1
	s_mov_b32 s13, 0
.LBB8_296:                              ;   Parent Loop BB8_229 Depth=1
                                        ; =>  This Inner Loop Header: Depth=2
	v_dual_mov_b32 v6, s10 :: v_dual_mov_b32 v7, s11
	s_sleep 1
	global_store_b64 v[10:11], v[8:9], off
	global_wb scope:SCOPE_SYS
	s_wait_storecnt 0x0
	global_atomic_cmpswap_b64 v[6:7], v3, v[6:9], s[2:3] offset:32 th:TH_ATOMIC_RETURN scope:SCOPE_SYS
	s_wait_loadcnt 0x0
	v_cmp_eq_u64_e32 vcc_lo, v[6:7], v[8:9]
	v_dual_mov_b32 v9, v7 :: v_dual_mov_b32 v8, v6
	s_wait_alu 0xfffe
	s_or_b32 s13, vcc_lo, s13
	s_wait_alu 0xfffe
	s_and_not1_b32 exec_lo, exec_lo, s13
	s_cbranch_execnz .LBB8_296
.LBB8_297:                              ;   in Loop: Header=BB8_229 Depth=1
	s_wait_alu 0xfffe
	s_or_b32 exec_lo, exec_lo, s12
	global_load_b64 v[6:7], v3, s[2:3] offset:16
	s_mov_b32 s13, exec_lo
	s_mov_b32 s12, exec_lo
	s_wait_alu 0xfffe
	v_mbcnt_lo_u32_b32 v2, s13, 0
	s_delay_alu instid0(VALU_DEP_1)
	v_cmpx_eq_u32_e32 0, v2
	s_cbranch_execz .LBB8_299
; %bb.298:                              ;   in Loop: Header=BB8_229 Depth=1
	s_bcnt1_i32_b32 s13, s13
	s_wait_alu 0xfffe
	v_mov_b32_e32 v2, s13
	global_wb scope:SCOPE_SYS
	s_wait_loadcnt 0x0
	s_wait_storecnt 0x0
	global_atomic_add_u64 v[6:7], v[2:3], off offset:8 scope:SCOPE_SYS
.LBB8_299:                              ;   in Loop: Header=BB8_229 Depth=1
	s_or_b32 exec_lo, exec_lo, s12
	s_wait_loadcnt 0x0
	global_load_b64 v[8:9], v[6:7], off offset:16
	s_wait_loadcnt 0x0
	v_cmp_eq_u64_e32 vcc_lo, 0, v[8:9]
	s_cbranch_vccnz .LBB8_301
; %bb.300:                              ;   in Loop: Header=BB8_229 Depth=1
	global_load_b32 v2, v[6:7], off offset:24
	s_wait_loadcnt 0x0
	v_readfirstlane_b32 s12, v2
	global_wb scope:SCOPE_SYS
	s_wait_storecnt 0x0
	global_store_b64 v[8:9], v[2:3], off scope:SCOPE_SYS
	s_and_b32 m0, s12, 0xffffff
	s_sendmsg sendmsg(MSG_INTERRUPT)
.LBB8_301:                              ;   in Loop: Header=BB8_229 Depth=1
	s_wait_alu 0xfffe
	s_or_b32 exec_lo, exec_lo, s1
	v_add_co_u32 v6, vcc_lo, v24, v30
	s_wait_alu 0xfffd
	v_add_co_ci_u32_e64 v7, null, 0, v25, vcc_lo
	s_branch .LBB8_305
.LBB8_302:                              ;   in Loop: Header=BB8_305 Depth=2
	s_wait_alu 0xfffe
	s_or_b32 exec_lo, exec_lo, s1
	s_delay_alu instid0(VALU_DEP_1)
	v_readfirstlane_b32 s1, v2
	s_cmp_eq_u32 s1, 0
	s_cbranch_scc1 .LBB8_304
; %bb.303:                              ;   in Loop: Header=BB8_305 Depth=2
	s_sleep 1
	s_cbranch_execnz .LBB8_305
	s_branch .LBB8_307
.LBB8_304:                              ;   in Loop: Header=BB8_229 Depth=1
	s_branch .LBB8_307
.LBB8_305:                              ;   Parent Loop BB8_229 Depth=1
                                        ; =>  This Inner Loop Header: Depth=2
	v_mov_b32_e32 v2, 1
	s_and_saveexec_b32 s1, s0
	s_cbranch_execz .LBB8_302
; %bb.306:                              ;   in Loop: Header=BB8_305 Depth=2
	global_load_b32 v2, v[26:27], off offset:20 scope:SCOPE_SYS
	s_wait_loadcnt 0x0
	global_inv scope:SCOPE_SYS
	v_and_b32_e32 v2, 1, v2
	s_branch .LBB8_302
.LBB8_307:                              ;   in Loop: Header=BB8_229 Depth=1
	global_load_b128 v[6:9], v[6:7], off
	s_and_saveexec_b32 s12, s0
	s_cbranch_execz .LBB8_228
; %bb.308:                              ;   in Loop: Header=BB8_229 Depth=1
	s_wait_loadcnt 0x0
	s_clause 0x2
	global_load_b64 v[8:9], v3, s[2:3] offset:40
	global_load_b64 v[16:17], v3, s[2:3] offset:24 scope:SCOPE_SYS
	global_load_b64 v[10:11], v3, s[2:3]
	s_wait_loadcnt 0x2
	v_readfirstlane_b32 s14, v8
	v_readfirstlane_b32 s15, v9
	s_add_nc_u64 s[0:1], s[14:15], 1
	s_wait_alu 0xfffe
	s_add_nc_u64 s[10:11], s[0:1], s[10:11]
	s_wait_alu 0xfffe
	s_cmp_eq_u64 s[10:11], 0
	s_cselect_b32 s1, s1, s11
	s_cselect_b32 s0, s0, s10
	s_wait_alu 0xfffe
	v_dual_mov_b32 v15, s1 :: v_dual_mov_b32 v14, s0
	s_and_b64 s[10:11], s[0:1], s[14:15]
	s_wait_alu 0xfffe
	s_mul_u64 s[10:11], s[10:11], 24
	s_wait_loadcnt 0x0
	s_wait_alu 0xfffe
	v_add_co_u32 v12, vcc_lo, v10, s10
	s_wait_alu 0xfffd
	v_add_co_ci_u32_e64 v13, null, s11, v11, vcc_lo
	global_store_b64 v[12:13], v[16:17], off
	global_wb scope:SCOPE_SYS
	s_wait_storecnt 0x0
	global_atomic_cmpswap_b64 v[10:11], v3, v[14:17], s[2:3] offset:24 th:TH_ATOMIC_RETURN scope:SCOPE_SYS
	s_wait_loadcnt 0x0
	v_cmp_ne_u64_e32 vcc_lo, v[10:11], v[16:17]
	s_and_b32 exec_lo, exec_lo, vcc_lo
	s_cbranch_execz .LBB8_228
; %bb.309:                              ;   in Loop: Header=BB8_229 Depth=1
	s_mov_b32 s10, 0
.LBB8_310:                              ;   Parent Loop BB8_229 Depth=1
                                        ; =>  This Inner Loop Header: Depth=2
	v_dual_mov_b32 v8, s0 :: v_dual_mov_b32 v9, s1
	s_sleep 1
	global_store_b64 v[12:13], v[10:11], off
	global_wb scope:SCOPE_SYS
	s_wait_storecnt 0x0
	global_atomic_cmpswap_b64 v[8:9], v3, v[8:11], s[2:3] offset:24 th:TH_ATOMIC_RETURN scope:SCOPE_SYS
	s_wait_loadcnt 0x0
	v_cmp_eq_u64_e32 vcc_lo, v[8:9], v[10:11]
	v_dual_mov_b32 v11, v9 :: v_dual_mov_b32 v10, v8
	s_wait_alu 0xfffe
	s_or_b32 s10, vcc_lo, s10
	s_wait_alu 0xfffe
	s_and_not1_b32 exec_lo, exec_lo, s10
	s_cbranch_execnz .LBB8_310
	s_branch .LBB8_228
.LBB8_311:
	s_mov_b32 s0, 0
	s_branch .LBB8_313
.LBB8_312:
	s_mov_b32 s0, -1
.LBB8_313:
	s_wait_alu 0xfffe
	s_and_b32 vcc_lo, exec_lo, s0
	s_wait_alu 0xfffe
	s_cbranch_vccz .LBB8_341
; %bb.314:
	v_readfirstlane_b32 s0, v31
	s_wait_loadcnt 0x0
	v_mov_b32_e32 v8, 0
	v_mov_b32_e32 v9, 0
	s_wait_alu 0xf1ff
	v_cmp_eq_u32_e64 s0, s0, v31
	s_and_saveexec_b32 s1, s0
	s_cbranch_execz .LBB8_320
; %bb.315:
	v_mov_b32_e32 v2, 0
	s_mov_b32 s4, exec_lo
	global_load_b64 v[5:6], v2, s[2:3] offset:24 scope:SCOPE_SYS
	s_wait_loadcnt 0x0
	global_inv scope:SCOPE_SYS
	s_clause 0x1
	global_load_b64 v[3:4], v2, s[2:3] offset:40
	global_load_b64 v[7:8], v2, s[2:3]
	s_wait_loadcnt 0x1
	v_and_b32_e32 v4, v4, v6
	v_and_b32_e32 v3, v3, v5
	s_delay_alu instid0(VALU_DEP_2) | instskip(NEXT) | instid1(VALU_DEP_2)
	v_mul_lo_u32 v4, 24, v4
	v_mul_lo_u32 v9, 0, v3
	v_mul_hi_u32 v10, 24, v3
	v_mul_lo_u32 v3, 24, v3
	s_delay_alu instid0(VALU_DEP_3) | instskip(SKIP_1) | instid1(VALU_DEP_2)
	v_add_nc_u32_e32 v4, v4, v9
	s_wait_loadcnt 0x0
	v_add_co_u32 v3, vcc_lo, v7, v3
	s_delay_alu instid0(VALU_DEP_2) | instskip(SKIP_1) | instid1(VALU_DEP_1)
	v_add_nc_u32_e32 v4, v4, v10
	s_wait_alu 0xfffd
	v_add_co_ci_u32_e64 v4, null, v8, v4, vcc_lo
	global_load_b64 v[3:4], v[3:4], off scope:SCOPE_SYS
	s_wait_loadcnt 0x0
	global_atomic_cmpswap_b64 v[8:9], v2, v[3:6], s[2:3] offset:24 th:TH_ATOMIC_RETURN scope:SCOPE_SYS
	s_wait_loadcnt 0x0
	global_inv scope:SCOPE_SYS
	v_cmpx_ne_u64_e64 v[8:9], v[5:6]
	s_cbranch_execz .LBB8_319
; %bb.316:
	s_mov_b32 s5, 0
.LBB8_317:                              ; =>This Inner Loop Header: Depth=1
	s_sleep 1
	s_clause 0x1
	global_load_b64 v[3:4], v2, s[2:3] offset:40
	global_load_b64 v[10:11], v2, s[2:3]
	v_dual_mov_b32 v5, v8 :: v_dual_mov_b32 v6, v9
	s_wait_loadcnt 0x1
	s_delay_alu instid0(VALU_DEP_1) | instskip(NEXT) | instid1(VALU_DEP_2)
	v_and_b32_e32 v3, v3, v5
	v_and_b32_e32 v4, v4, v6
	s_wait_loadcnt 0x0
	s_delay_alu instid0(VALU_DEP_2) | instskip(NEXT) | instid1(VALU_DEP_1)
	v_mad_co_u64_u32 v[7:8], null, v3, 24, v[10:11]
	v_mov_b32_e32 v3, v8
	s_delay_alu instid0(VALU_DEP_1) | instskip(NEXT) | instid1(VALU_DEP_1)
	v_mad_co_u64_u32 v[3:4], null, v4, 24, v[3:4]
	v_mov_b32_e32 v8, v3
	global_load_b64 v[3:4], v[7:8], off scope:SCOPE_SYS
	s_wait_loadcnt 0x0
	global_atomic_cmpswap_b64 v[8:9], v2, v[3:6], s[2:3] offset:24 th:TH_ATOMIC_RETURN scope:SCOPE_SYS
	s_wait_loadcnt 0x0
	global_inv scope:SCOPE_SYS
	v_cmp_eq_u64_e32 vcc_lo, v[8:9], v[5:6]
	s_wait_alu 0xfffe
	s_or_b32 s5, vcc_lo, s5
	s_wait_alu 0xfffe
	s_and_not1_b32 exec_lo, exec_lo, s5
	s_cbranch_execnz .LBB8_317
; %bb.318:
	s_or_b32 exec_lo, exec_lo, s5
.LBB8_319:
	s_wait_alu 0xfffe
	s_or_b32 exec_lo, exec_lo, s4
.LBB8_320:
	s_wait_alu 0xfffe
	s_or_b32 exec_lo, exec_lo, s1
	v_readfirstlane_b32 s5, v9
	v_mov_b32_e32 v2, 0
	v_readfirstlane_b32 s4, v8
	s_mov_b32 s1, exec_lo
	s_clause 0x1
	global_load_b64 v[10:11], v2, s[2:3] offset:40
	global_load_b128 v[4:7], v2, s[2:3]
	s_wait_loadcnt 0x1
	s_wait_alu 0xf1ff
	v_and_b32_e32 v11, s5, v11
	v_and_b32_e32 v10, s4, v10
	s_delay_alu instid0(VALU_DEP_2) | instskip(NEXT) | instid1(VALU_DEP_2)
	v_mul_lo_u32 v3, 24, v11
	v_mul_lo_u32 v8, 0, v10
	v_mul_hi_u32 v9, 24, v10
	v_mul_lo_u32 v12, 24, v10
	s_delay_alu instid0(VALU_DEP_3) | instskip(SKIP_1) | instid1(VALU_DEP_2)
	v_add_nc_u32_e32 v3, v3, v8
	s_wait_loadcnt 0x0
	v_add_co_u32 v8, vcc_lo, v4, v12
	s_delay_alu instid0(VALU_DEP_2) | instskip(SKIP_1) | instid1(VALU_DEP_1)
	v_add_nc_u32_e32 v3, v3, v9
	s_wait_alu 0xfffd
	v_add_co_ci_u32_e64 v9, null, v5, v3, vcc_lo
	s_and_saveexec_b32 s6, s0
	s_cbranch_execz .LBB8_322
; %bb.321:
	s_wait_alu 0xfffe
	v_dual_mov_b32 v12, s1 :: v_dual_mov_b32 v13, v2
	v_dual_mov_b32 v14, 2 :: v_dual_mov_b32 v15, 1
	global_store_b128 v[8:9], v[12:15], off offset:8
.LBB8_322:
	s_wait_alu 0xfffe
	s_or_b32 exec_lo, exec_lo, s6
	v_lshlrev_b64_e32 v[10:11], 12, v[10:11]
	s_mov_b32 s8, 0
	v_and_or_b32 v0, 0xffffff1d, v0, 34
	s_wait_alu 0xfffe
	s_mov_b32 s11, s8
	s_mov_b32 s9, s8
	;; [unrolled: 1-line block ×3, first 2 shown]
	v_add_co_u32 v6, vcc_lo, v6, v10
	s_wait_alu 0xfffd
	v_add_co_ci_u32_e64 v7, null, v7, v11, vcc_lo
	v_mov_b32_e32 v3, v2
	s_delay_alu instid0(VALU_DEP_3)
	v_readfirstlane_b32 s6, v6
	s_wait_alu 0xfffe
	v_dual_mov_b32 v13, s11 :: v_dual_mov_b32 v10, s8
	v_readfirstlane_b32 s7, v7
	v_dual_mov_b32 v12, s10 :: v_dual_mov_b32 v11, s9
	s_clause 0x3
	global_store_b128 v30, v[0:3], s[6:7]
	global_store_b128 v30, v[10:13], s[6:7] offset:16
	global_store_b128 v30, v[10:13], s[6:7] offset:32
	;; [unrolled: 1-line block ×3, first 2 shown]
	s_and_saveexec_b32 s1, s0
	s_cbranch_execz .LBB8_330
; %bb.323:
	v_mov_b32_e32 v6, 0
	s_mov_b32 s6, exec_lo
	s_clause 0x1
	global_load_b64 v[12:13], v6, s[2:3] offset:32 scope:SCOPE_SYS
	global_load_b64 v[0:1], v6, s[2:3] offset:40
	v_dual_mov_b32 v11, s5 :: v_dual_mov_b32 v10, s4
	s_wait_loadcnt 0x0
	v_and_b32_e32 v1, s5, v1
	v_and_b32_e32 v0, s4, v0
	s_delay_alu instid0(VALU_DEP_2) | instskip(NEXT) | instid1(VALU_DEP_2)
	v_mul_lo_u32 v1, 24, v1
	v_mul_lo_u32 v2, 0, v0
	v_mul_hi_u32 v3, 24, v0
	v_mul_lo_u32 v0, 24, v0
	s_delay_alu instid0(VALU_DEP_3) | instskip(NEXT) | instid1(VALU_DEP_2)
	v_add_nc_u32_e32 v1, v1, v2
	v_add_co_u32 v4, vcc_lo, v4, v0
	s_delay_alu instid0(VALU_DEP_2) | instskip(SKIP_1) | instid1(VALU_DEP_1)
	v_add_nc_u32_e32 v1, v1, v3
	s_wait_alu 0xfffd
	v_add_co_ci_u32_e64 v5, null, v5, v1, vcc_lo
	global_store_b64 v[4:5], v[12:13], off
	global_wb scope:SCOPE_SYS
	s_wait_storecnt 0x0
	global_atomic_cmpswap_b64 v[2:3], v6, v[10:13], s[2:3] offset:32 th:TH_ATOMIC_RETURN scope:SCOPE_SYS
	s_wait_loadcnt 0x0
	v_cmpx_ne_u64_e64 v[2:3], v[12:13]
	s_cbranch_execz .LBB8_326
; %bb.324:
	s_mov_b32 s7, 0
.LBB8_325:                              ; =>This Inner Loop Header: Depth=1
	v_dual_mov_b32 v0, s4 :: v_dual_mov_b32 v1, s5
	s_sleep 1
	global_store_b64 v[4:5], v[2:3], off
	global_wb scope:SCOPE_SYS
	s_wait_storecnt 0x0
	global_atomic_cmpswap_b64 v[0:1], v6, v[0:3], s[2:3] offset:32 th:TH_ATOMIC_RETURN scope:SCOPE_SYS
	s_wait_loadcnt 0x0
	v_cmp_eq_u64_e32 vcc_lo, v[0:1], v[2:3]
	v_dual_mov_b32 v3, v1 :: v_dual_mov_b32 v2, v0
	s_wait_alu 0xfffe
	s_or_b32 s7, vcc_lo, s7
	s_wait_alu 0xfffe
	s_and_not1_b32 exec_lo, exec_lo, s7
	s_cbranch_execnz .LBB8_325
.LBB8_326:
	s_wait_alu 0xfffe
	s_or_b32 exec_lo, exec_lo, s6
	v_mov_b32_e32 v3, 0
	s_mov_b32 s7, exec_lo
	s_mov_b32 s6, exec_lo
	s_wait_alu 0xfffe
	v_mbcnt_lo_u32_b32 v2, s7, 0
	global_load_b64 v[0:1], v3, s[2:3] offset:16
	v_cmpx_eq_u32_e32 0, v2
	s_cbranch_execz .LBB8_328
; %bb.327:
	s_bcnt1_i32_b32 s7, s7
	s_wait_alu 0xfffe
	v_mov_b32_e32 v2, s7
	global_wb scope:SCOPE_SYS
	s_wait_loadcnt 0x0
	s_wait_storecnt 0x0
	global_atomic_add_u64 v[0:1], v[2:3], off offset:8 scope:SCOPE_SYS
.LBB8_328:
	s_or_b32 exec_lo, exec_lo, s6
	s_wait_loadcnt 0x0
	global_load_b64 v[2:3], v[0:1], off offset:16
	s_wait_loadcnt 0x0
	v_cmp_eq_u64_e32 vcc_lo, 0, v[2:3]
	s_cbranch_vccnz .LBB8_330
; %bb.329:
	global_load_b32 v0, v[0:1], off offset:24
	v_mov_b32_e32 v1, 0
	s_wait_loadcnt 0x0
	v_readfirstlane_b32 s6, v0
	global_wb scope:SCOPE_SYS
	s_wait_storecnt 0x0
	global_store_b64 v[2:3], v[0:1], off scope:SCOPE_SYS
	s_and_b32 m0, s6, 0xffffff
	s_sendmsg sendmsg(MSG_INTERRUPT)
.LBB8_330:
	s_wait_alu 0xfffe
	s_or_b32 exec_lo, exec_lo, s1
	s_branch .LBB8_334
.LBB8_331:                              ;   in Loop: Header=BB8_334 Depth=1
	s_wait_alu 0xfffe
	s_or_b32 exec_lo, exec_lo, s1
	s_delay_alu instid0(VALU_DEP_1)
	v_readfirstlane_b32 s1, v0
	s_cmp_eq_u32 s1, 0
	s_cbranch_scc1 .LBB8_333
; %bb.332:                              ;   in Loop: Header=BB8_334 Depth=1
	s_sleep 1
	s_cbranch_execnz .LBB8_334
	s_branch .LBB8_336
.LBB8_333:
	s_branch .LBB8_336
.LBB8_334:                              ; =>This Inner Loop Header: Depth=1
	v_mov_b32_e32 v0, 1
	s_and_saveexec_b32 s1, s0
	s_cbranch_execz .LBB8_331
; %bb.335:                              ;   in Loop: Header=BB8_334 Depth=1
	global_load_b32 v0, v[8:9], off offset:20 scope:SCOPE_SYS
	s_wait_loadcnt 0x0
	global_inv scope:SCOPE_SYS
	v_and_b32_e32 v0, 1, v0
	s_branch .LBB8_331
.LBB8_336:
	s_and_saveexec_b32 s6, s0
	s_cbranch_execz .LBB8_340
; %bb.337:
	v_mov_b32_e32 v6, 0
	s_clause 0x2
	global_load_b64 v[0:1], v6, s[2:3] offset:40
	global_load_b64 v[9:10], v6, s[2:3] offset:24 scope:SCOPE_SYS
	global_load_b64 v[2:3], v6, s[2:3]
	s_wait_loadcnt 0x2
	v_readfirstlane_b32 s8, v0
	v_readfirstlane_b32 s9, v1
	s_add_nc_u64 s[0:1], s[8:9], 1
	s_wait_alu 0xfffe
	s_add_nc_u64 s[4:5], s[0:1], s[4:5]
	s_wait_alu 0xfffe
	s_cmp_eq_u64 s[4:5], 0
	s_cselect_b32 s1, s1, s5
	s_cselect_b32 s0, s0, s4
	s_wait_alu 0xfffe
	v_mov_b32_e32 v8, s1
	s_and_b64 s[4:5], s[0:1], s[8:9]
	v_mov_b32_e32 v7, s0
	s_wait_alu 0xfffe
	s_mul_u64 s[4:5], s[4:5], 24
	s_wait_loadcnt 0x0
	s_wait_alu 0xfffe
	v_add_co_u32 v4, vcc_lo, v2, s4
	s_wait_alu 0xfffd
	v_add_co_ci_u32_e64 v5, null, s5, v3, vcc_lo
	global_store_b64 v[4:5], v[9:10], off
	global_wb scope:SCOPE_SYS
	s_wait_storecnt 0x0
	global_atomic_cmpswap_b64 v[2:3], v6, v[7:10], s[2:3] offset:24 th:TH_ATOMIC_RETURN scope:SCOPE_SYS
	s_wait_loadcnt 0x0
	v_cmp_ne_u64_e32 vcc_lo, v[2:3], v[9:10]
	s_and_b32 exec_lo, exec_lo, vcc_lo
	s_cbranch_execz .LBB8_340
; %bb.338:
	s_mov_b32 s4, 0
.LBB8_339:                              ; =>This Inner Loop Header: Depth=1
	v_dual_mov_b32 v0, s0 :: v_dual_mov_b32 v1, s1
	s_sleep 1
	global_store_b64 v[4:5], v[2:3], off
	global_wb scope:SCOPE_SYS
	s_wait_storecnt 0x0
	global_atomic_cmpswap_b64 v[0:1], v6, v[0:3], s[2:3] offset:24 th:TH_ATOMIC_RETURN scope:SCOPE_SYS
	s_wait_loadcnt 0x0
	v_cmp_eq_u64_e32 vcc_lo, v[0:1], v[2:3]
	v_dual_mov_b32 v3, v1 :: v_dual_mov_b32 v2, v0
	s_wait_alu 0xfffe
	s_or_b32 s4, vcc_lo, s4
	s_wait_alu 0xfffe
	s_and_not1_b32 exec_lo, exec_lo, s4
	s_cbranch_execnz .LBB8_339
.LBB8_340:
	s_wait_alu 0xfffe
	s_or_b32 exec_lo, exec_lo, s6
.LBB8_341:
	s_getpc_b64 s[0:1]
	s_wait_alu 0xfffe
	s_sext_i32_i16 s1, s1
	s_add_co_u32 s0, s0, .str.29@rel32@lo+12
	s_wait_alu 0xfffe
	s_add_co_ci_u32 s1, s1, .str.29@rel32@hi+24
	s_getpc_b64 s[2:3]
	s_wait_alu 0xfffe
	s_sext_i32_i16 s3, s3
	s_add_co_u32 s2, s2, .str.19@rel32@lo+12
	s_wait_alu 0xfffe
	s_add_co_ci_u32 s3, s3, .str.19@rel32@hi+24
	s_getpc_b64 s[4:5]
	s_wait_alu 0xfffe
	s_sext_i32_i16 s5, s5
	s_add_co_u32 s4, s4, __PRETTY_FUNCTION__._ZN7VecsMemIjLi8192EE5fetchEi@rel32@lo+12
	s_wait_alu 0xfffe
	s_add_co_ci_u32 s5, s5, __PRETTY_FUNCTION__._ZN7VecsMemIjLi8192EE5fetchEi@rel32@hi+24
	s_wait_loadcnt 0x0
	v_dual_mov_b32 v0, s0 :: v_dual_mov_b32 v1, s1
	v_dual_mov_b32 v2, s2 :: v_dual_mov_b32 v3, s3
	;; [unrolled: 1-line block ×3, first 2 shown]
	s_wait_alu 0xfffe
	v_mov_b32_e32 v6, s5
	s_getpc_b64 s[6:7]
	s_wait_alu 0xfffe
	s_sext_i32_i16 s7, s7
	s_add_co_u32 s6, s6, __assert_fail@rel32@lo+12
	s_wait_alu 0xfffe
	s_add_co_ci_u32 s7, s7, __assert_fail@rel32@hi+24
	s_mov_b64 s[8:9], s[86:87]
	s_wait_alu 0xfffe
	s_swappc_b64 s[30:31], s[6:7]
	s_or_b32 s0, s28, exec_lo
.LBB8_342:
	s_or_b32 exec_lo, exec_lo, s19
	s_delay_alu instid0(SALU_CYCLE_1)
	s_and_not1_b32 s1, s28, exec_lo
	s_wait_alu 0xfffe
	s_and_b32 s0, s0, exec_lo
	s_wait_alu 0xfffe
	s_or_b32 s102, s1, s0
	s_or_not1_b32 s0, s18, exec_lo
.LBB8_343:
	s_wait_alu 0xfffe
	s_or_b32 exec_lo, exec_lo, s17
	s_mov_b32 s1, s82
	s_and_saveexec_b32 s39, s0
	s_cbranch_execz .LBB8_367
; %bb.344:
	v_cmp_ne_u32_e32 vcc_lo, -1, v44
	s_mov_b64 s[0:1], src_private_base
	s_mov_b32 s0, exec_lo
	s_wait_alu 0xfffc
	v_cndmask_b32_e64 v1, 0, s1, vcc_lo
	v_cndmask_b32_e32 v0, 0, v44, vcc_lo
	s_mov_b32 s1, 0
	scratch_store_b64 off, v[0:1], off offset:8
	v_cmpx_lt_i32_e32 0, v42
	s_cbranch_execz .LBB8_348
; %bb.345:
	v_mov_b32_e32 v0, v42
	s_mov_b32 s2, 20
.LBB8_346:                              ; =>This Inner Loop Header: Depth=1
	scratch_load_b32 v1, off, s2
	v_add_nc_u32_e32 v0, -1, v0
	s_wait_alu 0xfffe
	s_add_co_i32 s2, s2, 4
	s_delay_alu instid0(VALU_DEP_1) | instskip(SKIP_3) | instid1(VALU_DEP_1)
	v_cmp_eq_u32_e32 vcc_lo, 0, v0
	s_or_b32 s1, vcc_lo, s1
	s_wait_loadcnt 0x0
	v_lshrrev_b32_e32 v2, 1, v1
	v_or_b32_e32 v2, v2, v1
	s_delay_alu instid0(VALU_DEP_1) | instskip(NEXT) | instid1(VALU_DEP_1)
	v_and_b32_e32 v2, 0x55555555, v2
	v_lshl_add_u32 v2, v2, 1, v2
	s_delay_alu instid0(VALU_DEP_1)
	v_xor_b32_e32 v1, v2, v1
	scratch_store_b32 v44, v1, off
	v_add_nc_u32_e32 v44, 4, v44
	s_wait_alu 0xfffe
	s_and_not1_b32 exec_lo, exec_lo, s1
	s_cbranch_execnz .LBB8_346
; %bb.347:
	s_or_b32 exec_lo, exec_lo, s1
	scratch_store_b32 off, v42, off offset:4
.LBB8_348:
	v_writelane_b32 v45, s39, 16
	v_writelane_b32 v45, s38, 17
	;; [unrolled: 1-line block ×7, first 2 shown]
	s_or_b32 exec_lo, exec_lo, s0
	s_mov_b64 s[0:1], src_private_base
	s_wait_alu 0xfffe
	v_dual_mov_b32 v1, s1 :: v_dual_lshlrev_b32 v2, 1, v41
	v_dual_mov_b32 v0, 0 :: v_dual_mov_b32 v3, 16
	v_dual_mov_b32 v4, s85 :: v_dual_mov_b32 v5, 0x8018
	v_mov_b32_e32 v6, s1
	s_getpc_b64 s[2:3]
	s_wait_alu 0xfffe
	s_sext_i32_i16 s3, s3
	s_add_co_u32 s2, s2, _ZN3sop12sopFactorRecEPNS_3SopEiP7VecsMemIjLi8192EEPN8subgUtil4SubgILi256EEE@rel32@lo+12
	s_wait_alu 0xfffe
	s_add_co_ci_u32 s3, s3, _ZN3sop12sopFactorRecEPNS_3SopEiP7VecsMemIjLi8192EEPN8subgUtil4SubgILi256EEE@rel32@hi+24
	s_mov_b64 s[8:9], s[86:87]
	s_mov_b32 s96, s26
	s_wait_alu 0xfffe
	s_swappc_b64 s[30:31], s[2:3]
	v_ashrrev_i32_e32 v1, 1, v0
	s_mov_b32 s17, s82
	s_mov_b32 s18, s102
	s_delay_alu instid0(VALU_DEP_1)
	v_cmp_ge_i32_e32 vcc_lo, v1, v41
	s_mov_b32 s0, exec_lo
	v_readlane_b32 s36, v45, 0
	v_readlane_b32 s38, v45, 2
	;; [unrolled: 1-line block ×19, first 2 shown]
	s_wait_alu 0xfffe
	s_and_b32 s1, s0, vcc_lo
	s_mov_b32 s26, s96
	s_wait_alu 0xfffe
	s_xor_b32 s19, s1, s0
	v_readlane_b32 s48, v45, 12
	v_readlane_b32 s49, v45, 13
	v_readlane_b32 s50, v45, 14
	v_readlane_b32 s51, v45, 15
	s_mov_b32 exec_lo, s1
	s_cbranch_execz .LBB8_356
; %bb.349:
	s_mov_b32 s0, -1
	s_mov_b32 s1, s102
	s_and_saveexec_b32 s17, s83
	s_cbranch_execz .LBB8_355
; %bb.350:
	scratch_load_b32 v0, off, off offset:32792
	s_mov_b32 s18, 0
	s_wait_loadcnt 0x0
	v_lshlrev_b32_e32 v2, 3, v0
	scratch_load_b64 v[0:1], v2, off offset:32792
	s_wait_loadcnt 0x0
	v_lshrrev_b32_e32 v3, 1, v0
	v_cmp_lt_i64_e32 vcc_lo, -1, v[0:1]
	s_delay_alu instid0(VALU_DEP_2)
	v_cmp_ge_i32_e64 s0, v3, v1
	s_wait_alu 0xfffe
	s_and_b32 s0, vcc_lo, s0
	s_wait_alu 0xfffe
	s_and_saveexec_b32 s1, s0
	s_wait_alu 0xfffe
	s_xor_b32 s0, exec_lo, s1
	s_cbranch_execz .LBB8_352
; %bb.351:
	v_add_nc_u32_e32 v2, 0x8018, v2
	v_xor_b32_e32 v0, 1, v0
	s_mov_b32 s18, exec_lo
	scratch_store_b64 v2, v[0:1], off
.LBB8_352:
	s_wait_alu 0xfffe
	s_or_saveexec_b32 s20, s0
	s_mov_b32 s0, s102
	s_wait_alu 0xfffe
	s_xor_b32 exec_lo, exec_lo, s20
	s_cbranch_execz .LBB8_354
; %bb.353:
	s_getpc_b64 s[0:1]
	s_wait_alu 0xfffe
	s_sext_i32_i16 s1, s1
	s_add_co_u32 s0, s0, .str.46@rel32@lo+12
	s_wait_alu 0xfffe
	s_add_co_ci_u32 s1, s1, .str.46@rel32@hi+24
	s_getpc_b64 s[2:3]
	s_wait_alu 0xfffe
	s_sext_i32_i16 s3, s3
	s_add_co_u32 s2, s2, .str.44@rel32@lo+12
	s_wait_alu 0xfffe
	s_add_co_ci_u32 s3, s3, .str.44@rel32@hi+24
	s_getpc_b64 s[4:5]
	s_wait_alu 0xfffe
	s_sext_i32_i16 s5, s5
	s_add_co_u32 s4, s4, __PRETTY_FUNCTION__._ZN8subgUtil18formAndNodeKeyFlagEiii@rel32@lo+12
	s_wait_alu 0xfffe
	s_add_co_ci_u32 s5, s5, __PRETTY_FUNCTION__._ZN8subgUtil18formAndNodeKeyFlagEiii@rel32@hi+24
	v_dual_mov_b32 v0, s0 :: v_dual_mov_b32 v1, s1
	v_dual_mov_b32 v2, s2 :: v_dual_mov_b32 v3, s3
	;; [unrolled: 1-line block ×3, first 2 shown]
	s_wait_alu 0xfffe
	v_mov_b32_e32 v6, s5
	s_getpc_b64 s[6:7]
	s_wait_alu 0xfffe
	s_sext_i32_i16 s7, s7
	s_add_co_u32 s6, s6, __assert_fail@rel32@lo+12
	s_wait_alu 0xfffe
	s_add_co_ci_u32 s7, s7, __assert_fail@rel32@hi+24
	s_mov_b64 s[8:9], s[86:87]
	s_wait_alu 0xfffe
	s_swappc_b64 s[30:31], s[6:7]
	s_or_b32 s0, s102, exec_lo
.LBB8_354:
	s_or_b32 exec_lo, exec_lo, s20
	s_delay_alu instid0(SALU_CYCLE_1)
	s_and_not1_b32 s1, s102, exec_lo
	s_wait_alu 0xfffe
	s_and_b32 s0, s0, exec_lo
	s_wait_alu 0xfffe
	s_or_b32 s1, s1, s0
	s_or_not1_b32 s0, s18, exec_lo
.LBB8_355:
	s_wait_alu 0xfffe
	s_or_b32 exec_lo, exec_lo, s17
	s_delay_alu instid0(SALU_CYCLE_1)
	s_and_not1_b32 s2, s102, exec_lo
	s_and_b32 s1, s1, exec_lo
	s_and_not1_b32 s3, s82, exec_lo
	s_and_b32 s0, s0, exec_lo
	s_wait_alu 0xfffe
	s_or_b32 s18, s2, s1
	s_or_b32 s17, s3, s0
                                        ; implicit-def: $vgpr1
                                        ; implicit-def: $vgpr0
.LBB8_356:
	s_wait_alu 0xfffe
	s_and_not1_saveexec_b32 s19, s19
	s_cbranch_execz .LBB8_366
; %bb.357:
	scratch_load_b32 v2, off, off offset:32792
	s_mov_b32 s20, s18
	s_mov_b32 s0, exec_lo
	s_wait_loadcnt 0x0
	v_cmpx_ne_u32_e64 v2, v41
	s_wait_alu 0xfffe
	s_xor_b32 s21, exec_lo, s0
	s_cbranch_execz .LBB8_359
; %bb.358:
	s_getpc_b64 s[0:1]
	s_wait_alu 0xfffe
	s_sext_i32_i16 s1, s1
	s_add_co_u32 s0, s0, .str.32@rel32@lo+12
	s_wait_alu 0xfffe
	s_add_co_ci_u32 s1, s1, .str.32@rel32@hi+24
	s_getpc_b64 s[2:3]
	s_wait_alu 0xfffe
	s_sext_i32_i16 s3, s3
	s_add_co_u32 s2, s2, .str.31@rel32@lo+12
	s_wait_alu 0xfffe
	s_add_co_ci_u32 s3, s3, .str.31@rel32@hi+24
	s_getpc_b64 s[4:5]
	s_wait_alu 0xfffe
	s_sext_i32_i16 s5, s5
	s_add_co_u32 s4, s4, __PRETTY_FUNCTION__._ZN3sop9sopFactorEPjiiPKiiP7VecsMemIjLi8192EEPN8subgUtil4SubgILi256EEE@rel32@lo+12
	s_wait_alu 0xfffe
	s_add_co_ci_u32 s5, s5, __PRETTY_FUNCTION__._ZN3sop9sopFactorEPjiiPKiiP7VecsMemIjLi8192EEPN8subgUtil4SubgILi256EEE@rel32@hi+24
	v_dual_mov_b32 v0, s0 :: v_dual_mov_b32 v1, s1
	v_dual_mov_b32 v2, s2 :: v_dual_mov_b32 v3, s3
	;; [unrolled: 1-line block ×3, first 2 shown]
	s_wait_alu 0xfffe
	v_mov_b32_e32 v6, s5
	s_getpc_b64 s[6:7]
	s_wait_alu 0xfffe
	s_sext_i32_i16 s7, s7
	s_add_co_u32 s6, s6, __assert_fail@rel32@lo+12
	s_wait_alu 0xfffe
	s_add_co_ci_u32 s7, s7, __assert_fail@rel32@hi+24
	s_mov_b64 s[8:9], s[86:87]
	s_wait_alu 0xfffe
	s_swappc_b64 s[30:31], s[6:7]
	s_or_b32 s20, s18, exec_lo
                                        ; implicit-def: $vgpr1
                                        ; implicit-def: $vgpr0
.LBB8_359:
	s_wait_alu 0xfffe
	s_or_saveexec_b32 s21, s21
	s_mov_b32 s0, s17
	s_wait_alu 0xfffe
	s_xor_b32 exec_lo, exec_lo, s21
	s_cbranch_execz .LBB8_365
; %bb.360:
	v_ashrrev_i32_e32 v61, 31, v60
	v_ashrrev_i32_e32 v2, 31, v1
	s_mov_b32 s22, s17
	s_mov_b32 s0, exec_lo
	s_delay_alu instid0(VALU_DEP_2) | instskip(NEXT) | instid1(VALU_DEP_2)
	v_lshlrev_b64_e32 v[3:4], 2, v[60:61]
	v_lshlrev_b64_e32 v[1:2], 2, v[1:2]
	s_delay_alu instid0(VALU_DEP_2) | instskip(SKIP_1) | instid1(VALU_DEP_3)
	v_add_co_u32 v3, vcc_lo, s36, v3
	s_wait_alu 0xfffd
	v_add_co_ci_u32_e64 v4, null, s37, v4, vcc_lo
	s_delay_alu instid0(VALU_DEP_2) | instskip(SKIP_1) | instid1(VALU_DEP_2)
	v_add_co_u32 v1, vcc_lo, v3, v1
	s_wait_alu 0xfffd
	v_add_co_ci_u32_e64 v2, null, v4, v2, vcc_lo
	global_load_b32 v1, v[1:2], off
	s_wait_loadcnt 0x0
	v_lshlrev_b32_e32 v1, 1, v1
	s_delay_alu instid0(VALU_DEP_1)
	v_cmpx_lt_i32_e32 -1, v1
	s_wait_alu 0xfffe
	s_xor_b32 s0, exec_lo, s0
	s_cbranch_execz .LBB8_362
; %bb.361:
	v_and_b32_e32 v0, 1, v0
	v_add_nc_u32_e32 v2, 1, v41
	v_lshlrev_b32_e32 v3, 3, v41
	s_or_b32 s22, s17, exec_lo
	s_delay_alu instid0(VALU_DEP_3) | instskip(SKIP_3) | instid1(VALU_DEP_1)
	v_cmp_eq_u32_e32 vcc_lo, 1, v0
	s_xor_b32 s1, s83, vcc_lo
	s_wait_alu 0xfffe
	v_cndmask_b32_e64 v0, 0, 1, s1
	v_or_b32_e32 v1, v1, v0
	s_delay_alu instid0(VALU_DEP_1)
	v_lshl_or_b32 v0, v1, 1, v0
	scratch_store_b32 off, v2, off offset:32792
	scratch_store_b64 v3, v[0:1], off offset:32800
.LBB8_362:
	s_wait_alu 0xfffe
	s_or_saveexec_b32 s23, s0
	s_mov_b32 s0, s20
	s_wait_alu 0xfffe
	s_xor_b32 exec_lo, exec_lo, s23
	s_cbranch_execz .LBB8_364
; %bb.363:
	s_getpc_b64 s[0:1]
	s_wait_alu 0xfffe
	s_sext_i32_i16 s1, s1
	s_add_co_u32 s0, s0, .str.46@rel32@lo+12
	s_wait_alu 0xfffe
	s_add_co_ci_u32 s1, s1, .str.46@rel32@hi+24
	s_getpc_b64 s[2:3]
	s_wait_alu 0xfffe
	s_sext_i32_i16 s3, s3
	s_add_co_u32 s2, s2, .str.44@rel32@lo+12
	s_wait_alu 0xfffe
	s_add_co_ci_u32 s3, s3, .str.44@rel32@hi+24
	s_getpc_b64 s[4:5]
	s_wait_alu 0xfffe
	s_sext_i32_i16 s5, s5
	s_add_co_u32 s4, s4, __PRETTY_FUNCTION__._ZN8subgUtil18formAndNodeKeyFlagEiii@rel32@lo+12
	s_wait_alu 0xfffe
	s_add_co_ci_u32 s5, s5, __PRETTY_FUNCTION__._ZN8subgUtil18formAndNodeKeyFlagEiii@rel32@hi+24
	v_dual_mov_b32 v0, s0 :: v_dual_mov_b32 v1, s1
	v_dual_mov_b32 v2, s2 :: v_dual_mov_b32 v3, s3
	;; [unrolled: 1-line block ×3, first 2 shown]
	s_wait_alu 0xfffe
	v_mov_b32_e32 v6, s5
	s_getpc_b64 s[6:7]
	s_wait_alu 0xfffe
	s_sext_i32_i16 s7, s7
	s_add_co_u32 s6, s6, __assert_fail@rel32@lo+12
	s_wait_alu 0xfffe
	s_add_co_ci_u32 s7, s7, __assert_fail@rel32@hi+24
	s_mov_b64 s[8:9], s[86:87]
	s_wait_alu 0xfffe
	s_swappc_b64 s[30:31], s[6:7]
	s_or_b32 s0, s20, exec_lo
.LBB8_364:
	s_or_b32 exec_lo, exec_lo, s23
	s_delay_alu instid0(SALU_CYCLE_1)
	s_and_not1_b32 s1, s20, exec_lo
	s_wait_alu 0xfffe
	s_and_b32 s0, s0, exec_lo
	s_and_not1_b32 s2, s17, exec_lo
	s_and_b32 s3, s22, exec_lo
	s_wait_alu 0xfffe
	s_or_b32 s20, s1, s0
	s_or_b32 s0, s2, s3
.LBB8_365:
	s_or_b32 exec_lo, exec_lo, s21
	s_delay_alu instid0(SALU_CYCLE_1)
	s_and_not1_b32 s1, s18, exec_lo
	s_wait_alu 0xfffe
	s_and_b32 s2, s20, exec_lo
	s_and_not1_b32 s3, s17, exec_lo
	s_and_b32 s0, s0, exec_lo
	s_wait_alu 0xfffe
	s_or_b32 s18, s1, s2
	s_or_b32 s17, s3, s0
.LBB8_366:
	s_wait_alu 0xfffe
	s_or_b32 exec_lo, exec_lo, s19
	s_delay_alu instid0(SALU_CYCLE_1)
	s_and_not1_b32 s0, s102, exec_lo
	s_and_b32 s1, s18, exec_lo
	s_and_not1_b32 s2, s82, exec_lo
	s_and_b32 s3, s17, exec_lo
	s_wait_alu 0xfffe
	s_or_b32 s102, s0, s1
	s_or_b32 s1, s2, s3
.LBB8_367:
	s_wait_alu 0xfffe
	s_or_b32 exec_lo, exec_lo, s39
	s_delay_alu instid0(SALU_CYCLE_1)
	s_and_not1_b32 s0, s28, exec_lo
	s_and_b32 s2, s102, exec_lo
	s_and_not1_b32 s3, s82, exec_lo
	s_and_b32 s1, s1, exec_lo
	s_wait_alu 0xfffe
	s_or_b32 s17, s0, s2
	s_or_b32 s82, s3, s1
	s_and_not1_b32 s35, s35, exec_lo
	s_or_b32 exec_lo, exec_lo, s38
	s_wait_alu 0xfffe
	s_and_saveexec_b32 s0, s35
	s_cbranch_execz .LBB8_373
.LBB8_368:
	v_add_nc_u32_e32 v1, 1, v41
	v_lshl_add_u32 v0, v41, 3, 0x8018
	scratch_store_b32 off, v1, off offset:32792
	s_and_saveexec_b32 s1, s104
	s_wait_alu 0xfffe
	s_xor_b32 s1, exec_lo, s1
	s_cbranch_execz .LBB8_370
; %bb.369:
	v_dual_mov_b32 v1, 3 :: v_dual_mov_b32 v2, 1
	scratch_store_b64 v0, v[1:2], off offset:8
                                        ; implicit-def: $vgpr0
.LBB8_370:
	s_wait_alu 0xfffe
	s_and_not1_saveexec_b32 s1, s1
	s_cbranch_execz .LBB8_372
; %bb.371:
	v_mov_b32_e32 v1, 0
	s_delay_alu instid0(VALU_DEP_1)
	v_mov_b32_e32 v2, v1
	scratch_store_b64 v0, v[1:2], off offset:8
.LBB8_372:
	s_wait_alu 0xfffe
	s_or_b32 exec_lo, exec_lo, s1
	s_delay_alu instid0(SALU_CYCLE_1)
	s_or_b32 s82, s82, exec_lo
.LBB8_373:
	s_wait_alu 0xfffe
	s_or_b32 exec_lo, exec_lo, s0
	s_mov_b32 s0, 0
	s_mov_b32 s1, 0
	;; [unrolled: 1-line block ×3, first 2 shown]
	s_and_saveexec_b32 s18, s82
	s_cbranch_execz .LBB8_401
; %bb.374:
	s_wait_storecnt 0x0
	s_barrier_signal -1
	s_barrier_wait -1
	global_inv scope:SCOPE_SE
	scratch_load_b32 v5, off, off offset:32792
	v_cndmask_b32_e64 v0, 0, 1, s83
	s_mov_b32 s19, s17
	s_mov_b32 s0, exec_lo
	s_delay_alu instid0(VALU_DEP_1) | instskip(NEXT) | instid1(VALU_DEP_1)
	v_lshl_or_b32 v0, v62, 1, v0
	v_ashrrev_i32_e32 v1, 31, v0
	s_delay_alu instid0(VALU_DEP_1) | instskip(NEXT) | instid1(VALU_DEP_1)
	v_lshlrev_b64_e32 v[1:2], 2, v[0:1]
	v_add_co_u32 v3, vcc_lo, s44, v1
	s_wait_alu 0xfffd
	s_delay_alu instid0(VALU_DEP_2)
	v_add_co_ci_u32_e64 v4, null, s45, v2, vcc_lo
	s_wait_loadcnt 0x0
	v_sub_nc_u32_e32 v6, v5, v41
	global_store_b32 v[3:4], v6, off
	v_cmpx_gt_i32_e32 1, v6
	s_wait_alu 0xfffe
	s_xor_b32 s20, exec_lo, s0
	s_cbranch_execz .LBB8_376
; %bb.375:
	s_getpc_b64 s[0:1]
	s_wait_alu 0xfffe
	s_sext_i32_i16 s1, s1
	s_add_co_u32 s0, s0, .str.13@rel32@lo+12
	s_wait_alu 0xfffe
	s_add_co_ci_u32 s1, s1, .str.13@rel32@hi+24
	s_getpc_b64 s[2:3]
	s_wait_alu 0xfffe
	s_sext_i32_i16 s3, s3
	s_add_co_u32 s2, s2, .str.1@rel32@lo+12
	s_wait_alu 0xfffe
	s_add_co_ci_u32 s3, s3, .str.1@rel32@hi+24
	s_getpc_b64 s[4:5]
	s_wait_alu 0xfffe
	s_sext_i32_i16 s5, s5
	s_add_co_u32 s4, s4, __PRETTY_FUNCTION__._Z15factorFromTruthPKiS0_PyPiS2_S2_PKjS4_S0_S4_i@rel32@lo+12
	s_wait_alu 0xfffe
	s_add_co_ci_u32 s5, s5, __PRETTY_FUNCTION__._Z15factorFromTruthPKiS0_PyPiS2_S2_PKjS4_S0_S4_i@rel32@hi+24
	v_dual_mov_b32 v0, s0 :: v_dual_mov_b32 v1, s1
	v_dual_mov_b32 v2, s2 :: v_dual_mov_b32 v3, s3
	;; [unrolled: 1-line block ×3, first 2 shown]
	s_wait_alu 0xfffe
	v_mov_b32_e32 v6, s5
	s_getpc_b64 s[6:7]
	s_wait_alu 0xfffe
	s_sext_i32_i16 s7, s7
	s_add_co_u32 s6, s6, __assert_fail@rel32@lo+12
	s_wait_alu 0xfffe
	s_add_co_ci_u32 s7, s7, __assert_fail@rel32@hi+24
	s_mov_b64 s[8:9], s[86:87]
	s_wait_alu 0xfffe
	s_swappc_b64 s[30:31], s[6:7]
	s_or_b32 s19, s17, exec_lo
                                        ; implicit-def: $vgpr1_vgpr2
                                        ; implicit-def: $vgpr5
                                        ; implicit-def: $vgpr41
                                        ; implicit-def: $vgpr0
                                        ; implicit-def: $vgpr43
                                        ; implicit-def: $vgpr60
.LBB8_376:
	s_wait_alu 0xfffe
	s_or_saveexec_b32 s20, s20
	s_mov_b32 s0, 0
	s_mov_b32 s1, 0
	;; [unrolled: 1-line block ×3, first 2 shown]
	s_wait_alu 0xfffe
	s_xor_b32 exec_lo, exec_lo, s20
	s_cbranch_execz .LBB8_400
; %bb.377:
	v_add_co_u32 v1, vcc_lo, s42, v1
	s_wait_alu 0xfffd
	v_add_co_ci_u32_e64 v2, null, s43, v2, vcc_lo
	s_mov_b32 s0, s19
	s_mov_b32 s1, exec_lo
	global_load_b32 v3, v[1:2], off
	s_wait_loadcnt 0x0
	v_cmpx_ne_u32_e32 -1, v3
	s_wait_alu 0xfffe
	s_xor_b32 s21, exec_lo, s1
	s_cbranch_execz .LBB8_379
; %bb.378:
	s_getpc_b64 s[0:1]
	s_wait_alu 0xfffe
	s_sext_i32_i16 s1, s1
	s_add_co_u32 s0, s0, .str.11@rel32@lo+12
	s_wait_alu 0xfffe
	s_add_co_ci_u32 s1, s1, .str.11@rel32@hi+24
	s_getpc_b64 s[2:3]
	s_wait_alu 0xfffe
	s_sext_i32_i16 s3, s3
	s_add_co_u32 s2, s2, .str.1@rel32@lo+12
	s_wait_alu 0xfffe
	s_add_co_ci_u32 s3, s3, .str.1@rel32@hi+24
	s_getpc_b64 s[4:5]
	s_wait_alu 0xfffe
	s_sext_i32_i16 s5, s5
	s_add_co_u32 s4, s4, __PRETTY_FUNCTION__._Z15factorFromTruthPKiS0_PyPiS2_S2_PKjS4_S0_S4_i@rel32@lo+12
	s_wait_alu 0xfffe
	s_add_co_ci_u32 s5, s5, __PRETTY_FUNCTION__._Z15factorFromTruthPKiS0_PyPiS2_S2_PKjS4_S0_S4_i@rel32@hi+24
	v_dual_mov_b32 v0, s0 :: v_dual_mov_b32 v1, s1
	v_dual_mov_b32 v2, s2 :: v_dual_mov_b32 v3, s3
	;; [unrolled: 1-line block ×3, first 2 shown]
	s_wait_alu 0xfffe
	v_mov_b32_e32 v6, s5
	s_getpc_b64 s[6:7]
	s_wait_alu 0xfffe
	s_sext_i32_i16 s7, s7
	s_add_co_u32 s6, s6, __assert_fail@rel32@lo+12
	s_wait_alu 0xfffe
	s_add_co_ci_u32 s7, s7, __assert_fail@rel32@hi+24
	s_mov_b64 s[8:9], s[86:87]
	s_wait_alu 0xfffe
	s_swappc_b64 s[30:31], s[6:7]
	s_or_b32 s0, s19, exec_lo
                                        ; implicit-def: $vgpr1_vgpr2
                                        ; implicit-def: $vgpr5
                                        ; implicit-def: $vgpr41
                                        ; implicit-def: $vgpr0
                                        ; implicit-def: $vgpr43
                                        ; implicit-def: $vgpr60
.LBB8_379:
	s_wait_alu 0xfffe
	s_or_saveexec_b32 s1, s21
	s_mov_b32 s2, 0
	s_mov_b32 s3, 0
	;; [unrolled: 1-line block ×3, first 2 shown]
	s_wait_alu 0xfffe
	s_xor_b32 exec_lo, exec_lo, s1
	s_cbranch_execz .LBB8_399
; %bb.380:
	v_mov_b32_e32 v6, 0
	s_mov_b32 s6, -1
	s_mov_b32 s4, 0
	s_mov_b32 s3, exec_lo
	global_store_b32 v[1:2], v6, off
	v_cmpx_gt_i32_e64 v5, v41
	s_cbranch_execz .LBB8_396
; %bb.381:
	v_lshlrev_b32_e32 v1, 3, v43
	v_lshlrev_b32_e32 v2, 3, v60
	s_lshl_b32 s7, s101, 2
	s_mov_b32 s6, 0
	s_wait_alu 0xfffe
	s_add_co_i32 s7, s7, -1
                                        ; implicit-def: $sgpr5
                                        ; implicit-def: $sgpr4
	v_sub_nc_u32_e32 v1, v1, v2
	s_delay_alu instid0(VALU_DEP_1)
	v_add3_u32 v7, 0x8018, v1, 8
	v_mov_b32_e32 v1, 0
	s_branch .LBB8_383
.LBB8_382:                              ;   in Loop: Header=BB8_383 Depth=1
	s_wait_alu 0xfffe
	s_or_b32 exec_lo, exec_lo, s10
	s_xor_b32 s9, s9, -1
	s_xor_b32 s8, s8, -1
	s_and_b32 s10, exec_lo, s12
	s_wait_alu 0xfffe
	s_or_b32 s6, s10, s6
	s_and_not1_b32 s4, s4, exec_lo
	s_and_b32 s9, s9, exec_lo
	s_and_not1_b32 s5, s5, exec_lo
	s_and_b32 s8, s8, exec_lo
	s_wait_alu 0xfffe
	s_or_b32 s4, s4, s9
	s_or_b32 s5, s5, s8
	s_and_not1_b32 exec_lo, exec_lo, s6
	s_cbranch_execz .LBB8_393
.LBB8_383:                              ; =>This Inner Loop Header: Depth=1
	s_mov_b32 s11, -1
	s_mov_b32 s10, exec_lo
                                        ; implicit-def: $sgpr8
                                        ; implicit-def: $sgpr9
	s_delay_alu instid0(VALU_DEP_1)
	v_cmpx_eq_u32_e32 8, v1
	s_cbranch_execz .LBB8_391
; %bb.384:                              ;   in Loop: Header=BB8_383 Depth=1
	s_mov_b32 s9, exec_lo
	s_mov_b32 s8, exec_lo
	s_wait_alu 0xfffe
	v_mbcnt_lo_u32_b32 v1, s9, 0
                                        ; implicit-def: $vgpr2
	s_delay_alu instid0(VALU_DEP_1)
	v_cmpx_eq_u32_e32 0, v1
	s_cbranch_execz .LBB8_386
; %bb.385:                              ;   in Loop: Header=BB8_383 Depth=1
	s_bcnt1_i32_b32 s9, s9
	s_wait_alu 0xfffe
	v_mov_b32_e32 v2, s9
	global_atomic_add_u32 v2, v6, v2, s[46:47] th:TH_ATOMIC_RETURN scope:SCOPE_DEV
.LBB8_386:                              ;   in Loop: Header=BB8_383 Depth=1
	s_or_b32 exec_lo, exec_lo, s8
	s_wait_loadcnt 0x0
	v_readfirstlane_b32 s8, v2
	s_mov_b32 s12, 0
	s_mov_b32 s9, 0
	s_mov_b32 s11, exec_lo
	s_wait_alu 0xf1ff
	v_add_nc_u32_e32 v2, s8, v1
	s_mov_b32 s8, -1
	s_delay_alu instid0(VALU_DEP_1)
	v_cmpx_gt_i32_e64 s7, v2
	s_cbranch_execz .LBB8_390
; %bb.387:                              ;   in Loop: Header=BB8_383 Depth=1
	v_ashrrev_i32_e32 v3, 31, v2
	s_mov_b32 s8, exec_lo
	s_delay_alu instid0(VALU_DEP_1) | instskip(NEXT) | instid1(VALU_DEP_1)
	v_lshlrev_b64_e32 v[3:4], 2, v[2:3]
	v_add_co_u32 v3, vcc_lo, s42, v3
	s_wait_alu 0xfffd
	s_delay_alu instid0(VALU_DEP_2)
	v_add_co_ci_u32_e64 v4, null, s43, v4, vcc_lo
	global_load_b32 v1, v[3:4], off
	s_wait_loadcnt 0x0
	v_cmpx_eq_u32_e32 -1, v1
	s_cbranch_execz .LBB8_389
; %bb.388:                              ;   in Loop: Header=BB8_383 Depth=1
	v_ashrrev_i32_e32 v1, 31, v0
	s_mov_b32 s12, exec_lo
	s_delay_alu instid0(VALU_DEP_1) | instskip(NEXT) | instid1(VALU_DEP_1)
	v_lshlrev_b64_e32 v[0:1], 2, v[0:1]
	v_add_co_u32 v0, vcc_lo, s42, v0
	s_wait_alu 0xfffd
	s_delay_alu instid0(VALU_DEP_2)
	v_add_co_ci_u32_e64 v1, null, s43, v1, vcc_lo
	s_clause 0x1
	global_store_b32 v[0:1], v2, off
	global_store_b32 v[3:4], v6, off
.LBB8_389:                              ;   in Loop: Header=BB8_383 Depth=1
	s_wait_alu 0xfffe
	s_or_b32 exec_lo, exec_lo, s8
	s_delay_alu instid0(SALU_CYCLE_1)
	s_mov_b32 s9, exec_lo
	s_xor_b32 s8, exec_lo, -1
	s_and_b32 s12, s12, exec_lo
.LBB8_390:                              ;   in Loop: Header=BB8_383 Depth=1
	s_wait_alu 0xfffe
	s_or_b32 exec_lo, exec_lo, s11
	v_dual_mov_b32 v1, 0 :: v_dual_mov_b32 v0, v2
	s_or_not1_b32 s11, s12, exec_lo
.LBB8_391:                              ;   in Loop: Header=BB8_383 Depth=1
	s_wait_alu 0xfffe
	s_or_b32 exec_lo, exec_lo, s10
	s_mov_b32 s12, -1
	s_and_saveexec_b32 s10, s11
	s_cbranch_execz .LBB8_382
; %bb.392:                              ;   in Loop: Header=BB8_383 Depth=1
	scratch_load_b64 v[2:3], v7, off
	v_lshl_add_u32 v8, v0, 3, v1
	v_add_nc_u32_e32 v41, 1, v41
	v_add_nc_u32_e32 v1, 1, v1
	;; [unrolled: 1-line block ×3, first 2 shown]
	s_and_not1_b32 s9, s9, exec_lo
	v_ashrrev_i32_e32 v9, 31, v8
	s_and_not1_b32 s8, s8, exec_lo
	s_delay_alu instid0(VALU_DEP_1) | instskip(NEXT) | instid1(VALU_DEP_1)
	v_lshlrev_b64_e32 v[8:9], 3, v[8:9]
	v_add_co_u32 v8, vcc_lo, s40, v8
	s_wait_alu 0xfffd
	s_delay_alu instid0(VALU_DEP_2)
	v_add_co_ci_u32_e64 v9, null, s41, v9, vcc_lo
	v_cmp_ge_i32_e32 vcc_lo, v41, v5
	s_or_not1_b32 s12, vcc_lo, exec_lo
	s_wait_loadcnt 0x0
	global_store_b64 v[8:9], v[2:3], off
	s_branch .LBB8_382
.LBB8_393:
	s_or_b32 exec_lo, exec_lo, s6
	s_mov_b32 s6, 0
	s_mov_b32 s8, -1
	s_mov_b32 s7, 0
	s_wait_alu 0xfffe
	s_and_saveexec_b32 s9, s5
	s_wait_alu 0xfffe
	s_xor_b32 s5, exec_lo, s9
; %bb.394:
	s_mov_b32 s7, exec_lo
	s_xor_b32 s8, exec_lo, -1
	s_and_b32 s6, s4, exec_lo
; %bb.395:
	s_wait_alu 0xfffe
	s_or_b32 exec_lo, exec_lo, s5
	s_delay_alu instid0(SALU_CYCLE_1)
	s_and_b32 s5, s8, exec_lo
	s_and_b32 s4, s7, exec_lo
	s_or_not1_b32 s6, s6, exec_lo
.LBB8_396:
	s_wait_alu 0xfffe
	s_or_b32 exec_lo, exec_lo, s3
	s_and_saveexec_b32 s3, s6
	s_cbranch_execz .LBB8_398
; %bb.397:
	s_mov_b32 s2, exec_lo
	s_and_not1_b32 s4, s4, exec_lo
	s_wait_storecnt 0x0
	s_barrier_signal -1
	s_barrier_wait -1
	global_inv scope:SCOPE_SE
.LBB8_398:
	s_wait_alu 0xfffe
	s_or_b32 exec_lo, exec_lo, s3
	s_delay_alu instid0(SALU_CYCLE_1)
	s_and_b32 s5, s5, exec_lo
	s_and_b32 s3, s4, exec_lo
	;; [unrolled: 1-line block ×3, first 2 shown]
.LBB8_399:
	s_or_b32 exec_lo, exec_lo, s1
	s_delay_alu instid0(SALU_CYCLE_1)
	s_and_not1_b32 s1, s19, exec_lo
	s_and_b32 s0, s0, exec_lo
	s_wait_alu 0xfffe
	s_and_b32 s4, s5, exec_lo
	s_or_b32 s19, s1, s0
	s_and_b32 s1, s3, exec_lo
	s_and_b32 s0, s2, exec_lo
.LBB8_400:
	s_or_b32 exec_lo, exec_lo, s20
	s_delay_alu instid0(SALU_CYCLE_1)
	s_and_not1_b32 s2, s17, exec_lo
	s_wait_alu 0xfffe
	s_and_b32 s3, s19, exec_lo
	s_and_b32 s1, s1, exec_lo
	s_wait_alu 0xfffe
	s_or_b32 s17, s2, s3
	s_and_b32 s2, s4, exec_lo
	s_and_b32 s0, s0, exec_lo
.LBB8_401:
	s_wait_alu 0xfffe
	s_or_b32 exec_lo, exec_lo, s18
	s_delay_alu instid0(SALU_CYCLE_1)
	s_and_not1_b32 s3, s28, exec_lo
	s_and_b32 s4, s17, exec_lo
	s_and_b32 s2, s2, exec_lo
	s_wait_alu 0xfffe
	s_or_b32 s28, s3, s4
	s_and_b32 s1, s1, exec_lo
	s_and_b32 s0, s0, exec_lo
.LBB8_402:
	s_or_b32 exec_lo, exec_lo, s34
	s_delay_alu instid0(SALU_CYCLE_1)
	s_and_not1_b32 s3, s25, exec_lo
	s_wait_alu 0xfffe
	s_and_b32 s4, s28, exec_lo
	s_and_not1_b32 s26, s26, exec_lo
	s_wait_alu 0xfffe
	s_or_b32 s25, s3, s4
	s_and_b32 s3, s2, exec_lo
	s_and_b32 s2, s1, exec_lo
	;; [unrolled: 1-line block ×3, first 2 shown]
.LBB8_403:
	s_wait_alu 0xfffe
	s_or_b32 exec_lo, exec_lo, s100
	s_delay_alu instid0(SALU_CYCLE_1)
	s_and_not1_b32 s0, s29, exec_lo
	s_and_b32 s4, s25, exec_lo
	s_and_b32 s3, s3, exec_lo
	s_wait_alu 0xfffe
	s_or_b32 s29, s0, s4
	s_and_b32 s4, s26, exec_lo
	s_and_b32 s2, s2, exec_lo
	;; [unrolled: 1-line block ×3, first 2 shown]
.LBB8_404:
	s_or_b32 exec_lo, exec_lo, s103
	s_delay_alu instid0(SALU_CYCLE_1)
	s_and_not1_b32 s1, s98, exec_lo
	s_wait_alu 0xfffe
	s_and_b32 s5, s29, exec_lo
	s_and_b32 s4, s4, exec_lo
	s_wait_alu 0xfffe
	s_or_b32 s98, s1, s5
	s_and_b32 s3, s3, exec_lo
	s_and_b32 s1, s2, exec_lo
	;; [unrolled: 1-line block ×3, first 2 shown]
.LBB8_405:
	s_or_b32 exec_lo, exec_lo, s99
	s_wait_alu 0xfffe
	s_and_b32 s17, s98, exec_lo
	s_and_b32 s18, s4, exec_lo
	;; [unrolled: 1-line block ×4, first 2 shown]
	s_or_not1_b32 s3, s19, exec_lo
.LBB8_406:
	s_or_b32 exec_lo, exec_lo, s97
	s_wait_alu 0xfffe
	s_and_saveexec_b32 s0, s3
	s_wait_alu 0xfffe
	s_or_b32 exec_lo, exec_lo, s0
	s_and_saveexec_b32 s0, s2
	s_wait_alu 0xfffe
	s_xor_b32 s19, exec_lo, s0
	s_cbranch_execnz .LBB8_411
; %bb.407:
	s_wait_alu 0xfffe
	s_or_b32 exec_lo, exec_lo, s19
	s_and_saveexec_b32 s0, s20
	s_wait_alu 0xfffe
	s_xor_b32 s19, exec_lo, s0
	s_cbranch_execnz .LBB8_412
.LBB8_408:
	s_wait_alu 0xfffe
	s_or_b32 exec_lo, exec_lo, s19
	s_and_saveexec_b32 s19, s18
	s_cbranch_execnz .LBB8_413
.LBB8_409:
	s_wait_alu 0xfffe
	s_or_b32 exec_lo, exec_lo, s19
	s_and_saveexec_b32 s0, s17
	s_cbranch_execnz .LBB8_414
.LBB8_410:
	s_endpgm
.LBB8_411:
	s_getpc_b64 s[0:1]
	s_wait_alu 0xfffe
	s_sext_i32_i16 s1, s1
	s_add_co_u32 s0, s0, .str.11@rel32@lo+12
	s_wait_alu 0xfffe
	s_add_co_ci_u32 s1, s1, .str.11@rel32@hi+24
	s_getpc_b64 s[2:3]
	s_wait_alu 0xfffe
	s_sext_i32_i16 s3, s3
	s_add_co_u32 s2, s2, .str.1@rel32@lo+12
	s_wait_alu 0xfffe
	s_add_co_ci_u32 s3, s3, .str.1@rel32@hi+24
	s_getpc_b64 s[4:5]
	s_wait_alu 0xfffe
	s_sext_i32_i16 s5, s5
	s_add_co_u32 s4, s4, __PRETTY_FUNCTION__._Z15factorFromTruthPKiS0_PyPiS2_S2_PKjS4_S0_S4_i@rel32@lo+12
	s_wait_alu 0xfffe
	s_add_co_ci_u32 s5, s5, __PRETTY_FUNCTION__._Z15factorFromTruthPKiS0_PyPiS2_S2_PKjS4_S0_S4_i@rel32@hi+24
	v_dual_mov_b32 v0, s0 :: v_dual_mov_b32 v1, s1
	v_dual_mov_b32 v2, s2 :: v_dual_mov_b32 v3, s3
	;; [unrolled: 1-line block ×3, first 2 shown]
	s_wait_alu 0xfffe
	v_mov_b32_e32 v6, s5
	s_getpc_b64 s[6:7]
	s_wait_alu 0xfffe
	s_sext_i32_i16 s7, s7
	s_add_co_u32 s6, s6, __assert_fail@rel32@lo+12
	s_wait_alu 0xfffe
	s_add_co_ci_u32 s7, s7, __assert_fail@rel32@hi+24
	s_mov_b64 s[8:9], s[86:87]
	s_wait_alu 0xfffe
	s_swappc_b64 s[30:31], s[6:7]
	s_or_b32 s17, s17, exec_lo
	s_or_b32 exec_lo, exec_lo, s19
	s_and_saveexec_b32 s0, s20
	s_wait_alu 0xfffe
	s_xor_b32 s19, exec_lo, s0
	s_cbranch_execz .LBB8_408
.LBB8_412:
	s_getpc_b64 s[0:1]
	s_wait_alu 0xfffe
	s_sext_i32_i16 s1, s1
	s_add_co_u32 s0, s0, .str.14@rel32@lo+12
	s_wait_alu 0xfffe
	s_add_co_ci_u32 s1, s1, .str.14@rel32@hi+24
	s_getpc_b64 s[2:3]
	s_wait_alu 0xfffe
	s_sext_i32_i16 s3, s3
	s_add_co_u32 s2, s2, .str.1@rel32@lo+12
	s_wait_alu 0xfffe
	s_add_co_ci_u32 s3, s3, .str.1@rel32@hi+24
	s_getpc_b64 s[4:5]
	s_wait_alu 0xfffe
	s_sext_i32_i16 s5, s5
	s_add_co_u32 s4, s4, __PRETTY_FUNCTION__._Z15factorFromTruthPKiS0_PyPiS2_S2_PKjS4_S0_S4_i@rel32@lo+12
	s_wait_alu 0xfffe
	s_add_co_ci_u32 s5, s5, __PRETTY_FUNCTION__._Z15factorFromTruthPKiS0_PyPiS2_S2_PKjS4_S0_S4_i@rel32@hi+24
	v_dual_mov_b32 v0, s0 :: v_dual_mov_b32 v1, s1
	v_dual_mov_b32 v2, s2 :: v_dual_mov_b32 v3, s3
	;; [unrolled: 1-line block ×3, first 2 shown]
	s_wait_alu 0xfffe
	v_mov_b32_e32 v6, s5
	s_getpc_b64 s[6:7]
	s_wait_alu 0xfffe
	s_sext_i32_i16 s7, s7
	s_add_co_u32 s6, s6, __assert_fail@rel32@lo+12
	s_wait_alu 0xfffe
	s_add_co_ci_u32 s7, s7, __assert_fail@rel32@hi+24
	s_mov_b64 s[8:9], s[86:87]
	s_wait_alu 0xfffe
	s_swappc_b64 s[30:31], s[6:7]
	s_or_b32 s17, s17, exec_lo
	s_or_b32 exec_lo, exec_lo, s19
	s_and_saveexec_b32 s19, s18
	s_cbranch_execz .LBB8_409
.LBB8_413:
	s_getpc_b64 s[0:1]
	s_wait_alu 0xfffe
	s_sext_i32_i16 s1, s1
	s_add_co_u32 s0, s0, .str.18@rel32@lo+12
	s_wait_alu 0xfffe
	s_add_co_ci_u32 s1, s1, .str.18@rel32@hi+24
	s_getpc_b64 s[2:3]
	s_wait_alu 0xfffe
	s_sext_i32_i16 s3, s3
	s_add_co_u32 s2, s2, .str.19@rel32@lo+12
	s_wait_alu 0xfffe
	s_add_co_ci_u32 s3, s3, .str.19@rel32@hi+24
	s_getpc_b64 s[4:5]
	s_wait_alu 0xfffe
	s_sext_i32_i16 s5, s5
	s_add_co_u32 s4, s4, __PRETTY_FUNCTION__._ZN7VecsMemIjLi8192EE6shrinkEi@rel32@lo+12
	s_wait_alu 0xfffe
	s_add_co_ci_u32 s5, s5, __PRETTY_FUNCTION__._ZN7VecsMemIjLi8192EE6shrinkEi@rel32@hi+24
	v_dual_mov_b32 v0, s0 :: v_dual_mov_b32 v1, s1
	v_dual_mov_b32 v2, s2 :: v_dual_mov_b32 v3, s3
	;; [unrolled: 1-line block ×3, first 2 shown]
	s_wait_alu 0xfffe
	v_mov_b32_e32 v6, s5
	s_getpc_b64 s[6:7]
	s_wait_alu 0xfffe
	s_sext_i32_i16 s7, s7
	s_add_co_u32 s6, s6, __assert_fail@rel32@lo+12
	s_wait_alu 0xfffe
	s_add_co_ci_u32 s7, s7, __assert_fail@rel32@hi+24
	s_mov_b64 s[8:9], s[86:87]
	s_wait_alu 0xfffe
	s_swappc_b64 s[30:31], s[6:7]
	s_or_b32 s17, s17, exec_lo
	s_or_b32 exec_lo, exec_lo, s19
	s_wait_alu 0xfffe
	s_and_saveexec_b32 s0, s17
	s_cbranch_execz .LBB8_410
.LBB8_414:
	; divergent unreachable
	s_endpgm
	.section	.rodata,"a",@progbits
	.p2align	6, 0x0
	.amdhsa_kernel _Z15factorFromTruthPKiS0_PyPiS2_S2_PKjS4_S0_S4_i
		.amdhsa_group_segment_fixed_size 0
		.amdhsa_private_segment_fixed_size 35200
		.amdhsa_kernarg_size 344
		.amdhsa_user_sgpr_count 2
		.amdhsa_user_sgpr_dispatch_ptr 0
		.amdhsa_user_sgpr_queue_ptr 0
		.amdhsa_user_sgpr_kernarg_segment_ptr 1
		.amdhsa_user_sgpr_dispatch_id 0
		.amdhsa_user_sgpr_private_segment_size 0
		.amdhsa_wavefront_size32 1
		.amdhsa_uses_dynamic_stack 1
		.amdhsa_enable_private_segment 1
		.amdhsa_system_sgpr_workgroup_id_x 1
		.amdhsa_system_sgpr_workgroup_id_y 0
		.amdhsa_system_sgpr_workgroup_id_z 0
		.amdhsa_system_sgpr_workgroup_info 0
		.amdhsa_system_vgpr_workitem_id 0
		.amdhsa_next_free_vgpr 83
		.amdhsa_next_free_sgpr 105
		.amdhsa_reserve_vcc 1
		.amdhsa_float_round_mode_32 0
		.amdhsa_float_round_mode_16_64 0
		.amdhsa_float_denorm_mode_32 3
		.amdhsa_float_denorm_mode_16_64 3
		.amdhsa_fp16_overflow 0
		.amdhsa_workgroup_processor_mode 1
		.amdhsa_memory_ordered 1
		.amdhsa_forward_progress 1
		.amdhsa_inst_pref_size 161
		.amdhsa_round_robin_scheduling 0
		.amdhsa_exception_fp_ieee_invalid_op 0
		.amdhsa_exception_fp_denorm_src 0
		.amdhsa_exception_fp_ieee_div_zero 0
		.amdhsa_exception_fp_ieee_overflow 0
		.amdhsa_exception_fp_ieee_underflow 0
		.amdhsa_exception_fp_ieee_inexact 0
		.amdhsa_exception_int_div_zero 0
	.end_amdhsa_kernel
	.text
.Lfunc_end8:
	.size	_Z15factorFromTruthPKiS0_PyPiS2_S2_PKjS4_S0_S4_i, .Lfunc_end8-_Z15factorFromTruthPKiS0_PyPiS2_S2_PKjS4_S0_S4_i
                                        ; -- End function
	.set _Z15factorFromTruthPKiS0_PyPiS2_S2_PKjS4_S0_S4_i.num_vgpr, max(74, .L__assert_fail.num_vgpr, .L_ZN3sop13minatoIsopRecEPKjS1_iPNS_3SopEP7VecsMemIjLi8192EE.num_vgpr, .L_ZN3sop12sopFactorRecEPNS_3SopEiP7VecsMemIjLi8192EEPN8subgUtil4SubgILi256EEE.num_vgpr)
	.set _Z15factorFromTruthPKiS0_PyPiS2_S2_PKjS4_S0_S4_i.num_agpr, max(0, .L__assert_fail.num_agpr, .L_ZN3sop13minatoIsopRecEPKjS1_iPNS_3SopEP7VecsMemIjLi8192EE.num_agpr, .L_ZN3sop12sopFactorRecEPNS_3SopEiP7VecsMemIjLi8192EEPN8subgUtil4SubgILi256EEE.num_agpr)
	.set _Z15factorFromTruthPKiS0_PyPiS2_S2_PKjS4_S0_S4_i.numbered_sgpr, max(105, .L__assert_fail.numbered_sgpr, .L_ZN3sop13minatoIsopRecEPKjS1_iPNS_3SopEP7VecsMemIjLi8192EE.numbered_sgpr, .L_ZN3sop12sopFactorRecEPNS_3SopEiP7VecsMemIjLi8192EEPN8subgUtil4SubgILi256EEE.numbered_sgpr)
	.set _Z15factorFromTruthPKiS0_PyPiS2_S2_PKjS4_S0_S4_i.num_named_barrier, max(0, .L__assert_fail.num_named_barrier, .L_ZN3sop13minatoIsopRecEPKjS1_iPNS_3SopEP7VecsMemIjLi8192EE.num_named_barrier, .L_ZN3sop12sopFactorRecEPNS_3SopEiP7VecsMemIjLi8192EEPN8subgUtil4SubgILi256EEE.num_named_barrier)
	.set _Z15factorFromTruthPKiS0_PyPiS2_S2_PKjS4_S0_S4_i.private_seg_size, 34864+max(.L__assert_fail.private_seg_size, .L_ZN3sop13minatoIsopRecEPKjS1_iPNS_3SopEP7VecsMemIjLi8192EE.private_seg_size, .L_ZN3sop12sopFactorRecEPNS_3SopEiP7VecsMemIjLi8192EEPN8subgUtil4SubgILi256EEE.private_seg_size)
	.set _Z15factorFromTruthPKiS0_PyPiS2_S2_PKjS4_S0_S4_i.uses_vcc, or(1, .L__assert_fail.uses_vcc, .L_ZN3sop13minatoIsopRecEPKjS1_iPNS_3SopEP7VecsMemIjLi8192EE.uses_vcc, .L_ZN3sop12sopFactorRecEPNS_3SopEiP7VecsMemIjLi8192EEPN8subgUtil4SubgILi256EEE.uses_vcc)
	.set _Z15factorFromTruthPKiS0_PyPiS2_S2_PKjS4_S0_S4_i.uses_flat_scratch, or(0, .L__assert_fail.uses_flat_scratch, .L_ZN3sop13minatoIsopRecEPKjS1_iPNS_3SopEP7VecsMemIjLi8192EE.uses_flat_scratch, .L_ZN3sop12sopFactorRecEPNS_3SopEiP7VecsMemIjLi8192EEPN8subgUtil4SubgILi256EEE.uses_flat_scratch)
	.set _Z15factorFromTruthPKiS0_PyPiS2_S2_PKjS4_S0_S4_i.has_dyn_sized_stack, or(0, .L__assert_fail.has_dyn_sized_stack, .L_ZN3sop13minatoIsopRecEPKjS1_iPNS_3SopEP7VecsMemIjLi8192EE.has_dyn_sized_stack, .L_ZN3sop12sopFactorRecEPNS_3SopEiP7VecsMemIjLi8192EEPN8subgUtil4SubgILi256EEE.has_dyn_sized_stack)
	.set _Z15factorFromTruthPKiS0_PyPiS2_S2_PKjS4_S0_S4_i.has_recursion, or(1, .L__assert_fail.has_recursion, .L_ZN3sop13minatoIsopRecEPKjS1_iPNS_3SopEP7VecsMemIjLi8192EE.has_recursion, .L_ZN3sop12sopFactorRecEPNS_3SopEiP7VecsMemIjLi8192EEPN8subgUtil4SubgILi256EEE.has_recursion)
	.set _Z15factorFromTruthPKiS0_PyPiS2_S2_PKjS4_S0_S4_i.has_indirect_call, or(0, .L__assert_fail.has_indirect_call, .L_ZN3sop13minatoIsopRecEPKjS1_iPNS_3SopEP7VecsMemIjLi8192EE.has_indirect_call, .L_ZN3sop12sopFactorRecEPNS_3SopEiP7VecsMemIjLi8192EEPN8subgUtil4SubgILi256EEE.has_indirect_call)
	.section	.AMDGPU.csdata,"",@progbits
; Kernel info:
; codeLenInByte = 20604
; TotalNumSgprs: 107
; NumVgprs: 83
; ScratchSize: 35200
; MemoryBound: 0
; FloatMode: 240
; IeeeMode: 1
; LDSByteSize: 0 bytes/workgroup (compile time only)
; SGPRBlocks: 0
; VGPRBlocks: 10
; NumSGPRsForWavesPerEU: 107
; NumVGPRsForWavesPerEU: 83
; Occupancy: 16
; WaveLimiterHint : 1
; COMPUTE_PGM_RSRC2:SCRATCH_EN: 1
; COMPUTE_PGM_RSRC2:USER_SGPR: 2
; COMPUTE_PGM_RSRC2:TRAP_HANDLER: 0
; COMPUTE_PGM_RSRC2:TGID_X_EN: 1
; COMPUTE_PGM_RSRC2:TGID_Y_EN: 0
; COMPUTE_PGM_RSRC2:TGID_Z_EN: 0
; COMPUTE_PGM_RSRC2:TIDIG_COMP_CNT: 0
	.text
	.p2alignl 7, 3214868480
	.fill 96, 4, 3214868480
	.section	.AMDGPU.gpr_maximums,"",@progbits
	.set amdgpu.max_num_vgpr, 83
	.set amdgpu.max_num_agpr, 0
	.set amdgpu.max_num_sgpr, 86
	.text
	.type	__const.__assert_fail.fmt,@object ; @__const.__assert_fail.fmt
	.section	.rodata.str1.16,"aMS",@progbits,1
	.p2align	4, 0x0
__const.__assert_fail.fmt:
	.asciz	"%s:%u: %s: Device-side assertion `%s' failed.\n"
	.size	__const.__assert_fail.fmt, 47

	.type	.str,@object                    ; @.str
	.section	.rodata.str1.1,"aMS",@progbits,1
.str:
	.asciz	"lit0 < lit1"
	.size	.str, 12

	.type	.str.1,@object                  ; @.str.1
.str.1:
	.asciz	"/root/src/amdgpu-assembly/repos/zjin-lcf__HeCBench/src/logic-rewrite-hip/refactor_core.cu"
	.size	.str.1, 90

	.type	__PRETTY_FUNCTION__._Z12evaluateSubgiPiPKiiiiS1_PKyPKjiPKN8subgUtil4SubgILi256EEE,@object ; @__PRETTY_FUNCTION__._Z12evaluateSubgiPiPKiiiiS1_PKyPKjiPKN8subgUtil4SubgILi256EEE
__PRETTY_FUNCTION__._Z12evaluateSubgiPiPKiiiiS1_PKyPKjiPKN8subgUtil4SubgILi256EEE:
	.asciz	"int evaluateSubg(int, int *, const int *, int, int, int, const int *, const uint64 *, const uint32 *, int, const subgUtil::Subg<SUBG_CAP> *)"
	.size	__PRETTY_FUNCTION__._Z12evaluateSubgiPiPKiiiiS1_PKyPKjiPKN8subgUtil4SubgILi256EEE, 141

	.type	.str.2,@object                  ; @.str.2
.str.2:
	.asciz	"id0 < i && id1 < i"
	.size	.str.2, 19

	.type	.str.7,@object                  ; @.str.7
.str.7:
	.asciz	"endIdx - startIdx == nWords"
	.size	.str.7, 28

	.type	__PRETTY_FUNCTION__._Z8resynCutPKiS0_S0_S0_PKyPKjiS0_PyPiS6_S6_PjS0_S4_ii,@object ; @__PRETTY_FUNCTION__._Z8resynCutPKiS0_S0_S0_PKyPKjiS0_PyPiS6_S6_PjS0_S4_ii
__PRETTY_FUNCTION__._Z8resynCutPKiS0_S0_S0_PKyPKjiS0_PyPiS6_S6_PjS0_S4_ii:
	.asciz	"void resynCut(const int *, const int *, const int *, const int *, const uint64 *, const uint32 *, int, const int *, uint64 *, int *, int *, int *, unsigned int *, const int *, const unsigned int *, int, int)"
	.size	__PRETTY_FUNCTION__._Z8resynCutPKiS0_S0_S0_PKyPKjiS0_PyPiS6_S6_PjS0_S4_ii, 208

	.type	.str.8,@object                  ; @.str.8
.str.8:
	.asciz	"vSubgLens[idx] > 0"
	.size	.str.8, 19

	.type	.str.9,@object                  ; @.str.9
.str.9:
	.asciz	"vSubgLinks[idx] == -1"
	.size	.str.9, 22

	.type	.str.10,@object                 ; @.str.10
.str.10:
	.asciz	"currRowIdx < 2 * nResyn - 1"
	.size	.str.10, 28

	.type	.str.11,@object                 ; @.str.11
.str.11:
	.asciz	"vSubgLinks[currRowIdx] == -1"
	.size	.str.11, 29

	.type	.str.12,@object                 ; @.str.12
.str.12:
	.asciz	"truthEndIdx - truthStartIdx == dUtils::TruthWordNum(nVars)"
	.size	.str.12, 59

	.type	__PRETTY_FUNCTION__._Z15factorFromTruthPKiS0_PyPiS2_S2_PKjS4_S0_S4_i,@object ; @__PRETTY_FUNCTION__._Z15factorFromTruthPKiS0_PyPiS2_S2_PKjS4_S0_S4_i
__PRETTY_FUNCTION__._Z15factorFromTruthPKiS0_PyPiS2_S2_PKjS4_S0_S4_i:
	.asciz	"void factorFromTruth(const int *, const int *, uint64 *, int *, int *, int *, const unsigned int *, const unsigned int *, const int *, const unsigned int *, int)"
	.size	__PRETTY_FUNCTION__._Z15factorFromTruthPKiS0_PyPiS2_S2_PKjS4_S0_S4_i, 162

	.type	.str.13,@object                 ; @.str.13
.str.13:
	.asciz	"vSubgLens[currRowIdx] > 0"
	.size	.str.13, 26

	.type	.str.14,@object                 ; @.str.14
.str.14:
	.asciz	"currRowIdx < 4 * nResyn - 1"
	.size	.str.14, 28

	.type	.str.15,@object                 ; @.str.15
.str.15:
	.asciz	"truthUtil::truthEqual(puTruth, pResult, nVars)"
	.size	.str.15, 47

	.type	.str.16,@object                 ; @.str.16
.str.16:
	.asciz	"/root/src/amdgpu-assembly/repos/zjin-lcf__HeCBench/src/logic-rewrite-hip/minato_isop.cuh"
	.size	.str.16, 89

	.type	__PRETTY_FUNCTION__._ZN3sop10minatoIsopEPKjiP7VecsMemIjLi8192EE,@object ; @__PRETTY_FUNCTION__._ZN3sop10minatoIsopEPKjiP7VecsMemIjLi8192EE
__PRETTY_FUNCTION__._ZN3sop10minatoIsopEPKjiP7VecsMemIjLi8192EE:
	.asciz	"void sop::minatoIsop(const unsigned int *, int, VecsMem<unsigned int, ISOP_FACTOR_MEM_CAP> *)"
	.size	__PRETTY_FUNCTION__._ZN3sop10minatoIsopEPKjiP7VecsMemIjLi8192EE, 94

	.type	.str.17,@object                 ; @.str.17
.str.17:
	.asciz	"pTemp != NULL"
	.size	.str.17, 14

	.type	.str.18,@object                 ; @.str.18
.str.18:
	.asciz	"nSize >= nSizeNew"
	.size	.str.18, 18

	.type	.str.19,@object                 ; @.str.19
.str.19:
	.asciz	"/root/src/amdgpu-assembly/repos/zjin-lcf__HeCBench/src/logic-rewrite-hip/vectors.cuh"
	.size	.str.19, 85

	.type	__PRETTY_FUNCTION__._ZN7VecsMemIjLi8192EE6shrinkEi,@object ; @__PRETTY_FUNCTION__._ZN7VecsMemIjLi8192EE6shrinkEi
__PRETTY_FUNCTION__._ZN7VecsMemIjLi8192EE6shrinkEi:
	.asciz	"void VecsMem<unsigned int, 8192>::shrink(int) [T = unsigned int, nCap = 8192]"
	.size	__PRETTY_FUNCTION__._ZN7VecsMemIjLi8192EE6shrinkEi, 78

	.type	__PRETTY_FUNCTION__._ZN3sop13minatoIsopRecEPKjS1_iPNS_3SopEP7VecsMemIjLi8192EE,@object ; @__PRETTY_FUNCTION__._ZN3sop13minatoIsopRecEPKjS1_iPNS_3SopEP7VecsMemIjLi8192EE
__PRETTY_FUNCTION__._ZN3sop13minatoIsopRecEPKjS1_iPNS_3SopEP7VecsMemIjLi8192EE:
	.asciz	"unsigned int *sop::minatoIsopRec(const unsigned int *, const unsigned int *, int, Sop *, VecsMem<unsigned int, ISOP_FACTOR_MEM_CAP> *)"
	.size	__PRETTY_FUNCTION__._ZN3sop13minatoIsopRecEPKjS1_iPNS_3SopEP7VecsMemIjLi8192EE, 135

	.type	.str.20,@object                 ; @.str.20
.str.20:
	.asciz	"pcRes->pCubes != NULL"
	.size	.str.20, 22

	.type	.str.21,@object                 ; @.str.21
.str.21:
	.asciz	"Var >= 0"
	.size	.str.21, 9

	.type	.str.23,@object                 ; @.str.23
.str.23:
	.asciz	"k == pcRes->nCubes"
	.size	.str.23, 19

	.type	__const._ZN3sop14minatoIsop5RecEjjiPNS_3SopEP7VecsMemIjLi8192EE.uMasks,@object ; @__const._ZN3sop14minatoIsop5RecEjjiPNS_3SopEP7VecsMemIjLi8192EE.uMasks
	.section	.rodata,"a",@progbits
	.p2align	4, 0x0
__const._ZN3sop14minatoIsop5RecEjjiPNS_3SopEP7VecsMemIjLi8192EE.uMasks:
	.long	2863311530                      ; 0xaaaaaaaa
	.long	3435973836                      ; 0xcccccccc
	.long	4042322160                      ; 0xf0f0f0f0
	.long	4278255360                      ; 0xff00ff00
	.long	4294901760                      ; 0xffff0000
	.size	__const._ZN3sop14minatoIsop5RecEjjiPNS_3SopEP7VecsMemIjLi8192EE.uMasks, 20

	.type	__PRETTY_FUNCTION__._ZN3sop14minatoIsop5RecEjjiPNS_3SopEP7VecsMemIjLi8192EE,@object ; @__PRETTY_FUNCTION__._ZN3sop14minatoIsop5RecEjjiPNS_3SopEP7VecsMemIjLi8192EE
	.section	.rodata.str1.1,"aMS",@progbits,1
__PRETTY_FUNCTION__._ZN3sop14minatoIsop5RecEjjiPNS_3SopEP7VecsMemIjLi8192EE:
	.asciz	"unsigned int sop::minatoIsop5Rec(unsigned int, unsigned int, int, Sop *, VecsMem<unsigned int, ISOP_FACTOR_MEM_CAP> *)"
	.size	__PRETTY_FUNCTION__._ZN3sop14minatoIsop5RecEjjiPNS_3SopEP7VecsMemIjLi8192EE, 119

	.type	.str.27,@object                 ; @.str.27
.str.27:
	.asciz	"(uOn & ~uOnDc) == 0"
	.size	.str.27, 20

	.type	.str.28,@object                 ; @.str.28
.str.28:
	.asciz	"try to decrease K in refactor !!!\n"
	.size	.str.28, 35

	.type	.str.29,@object                 ; @.str.29
.str.29:
	.asciz	"0"
	.size	.str.29, 2

	.type	__PRETTY_FUNCTION__._ZN7VecsMemIjLi8192EE5fetchEi,@object ; @__PRETTY_FUNCTION__._ZN7VecsMemIjLi8192EE5fetchEi
__PRETTY_FUNCTION__._ZN7VecsMemIjLi8192EE5fetchEi:
	.asciz	"T *VecsMem<unsigned int, 8192>::fetch(int) [T = unsigned int, nCap = 8192]"
	.size	__PRETTY_FUNCTION__._ZN7VecsMemIjLi8192EE5fetchEi, 75

	.type	.str.30,@object                 ; @.str.30
.str.30:
	.asciz	"nVars < 16"
	.size	.str.30, 11

	.type	.str.31,@object                 ; @.str.31
.str.31:
	.asciz	"/root/src/amdgpu-assembly/repos/zjin-lcf__HeCBench/src/logic-rewrite-hip/alg_factor.cuh"
	.size	.str.31, 88

	.type	__PRETTY_FUNCTION__._ZN3sop9sopFactorEPjiiPKiiP7VecsMemIjLi8192EEPN8subgUtil4SubgILi256EEE,@object ; @__PRETTY_FUNCTION__._ZN3sop9sopFactorEPjiiPKiiP7VecsMemIjLi8192EEPN8subgUtil4SubgILi256EEE
__PRETTY_FUNCTION__._ZN3sop9sopFactorEPjiiPKiiP7VecsMemIjLi8192EEPN8subgUtil4SubgILi256EEE:
	.asciz	"void sop::sopFactor(unsigned int *, int, int, const int *, int, VecsMem<unsigned int, ISOP_FACTOR_MEM_CAP> *, subgUtil::Subg<SUBG_CAP> *)"
	.size	__PRETTY_FUNCTION__._ZN3sop9sopFactorEPjiiPKiiP7VecsMemIjLi8192EEPN8subgUtil4SubgILi256EEE, 138

	.type	.str.32,@object                 ; @.str.32
.str.32:
	.asciz	"subg->nSize == nVars"
	.size	.str.32, 21

	.type	.str.33,@object                 ; @.str.33
.str.33:
	.asciz	"cSop->nCubes > 0"
	.size	.str.33, 17

	.type	__PRETTY_FUNCTION__._ZN3sop12sopFactorRecEPNS_3SopEiP7VecsMemIjLi8192EEPN8subgUtil4SubgILi256EEE,@object ; @__PRETTY_FUNCTION__._ZN3sop12sopFactorRecEPNS_3SopEiP7VecsMemIjLi8192EEPN8subgUtil4SubgILi256EEE
__PRETTY_FUNCTION__._ZN3sop12sopFactorRecEPNS_3SopEiP7VecsMemIjLi8192EEPN8subgUtil4SubgILi256EEE:
	.asciz	"int sop::sopFactorRec(Sop *, int, VecsMem<unsigned int, ISOP_FACTOR_MEM_CAP> *, subgUtil::Subg<SUBG_CAP> *)"
	.size	__PRETTY_FUNCTION__._ZN3sop12sopFactorRecEPNS_3SopEiP7VecsMemIjLi8192EEPN8subgUtil4SubgILi256EEE, 108

	.type	.str.34,@object                 ; @.str.34
.str.34:
	.asciz	"cQuo->nCubes > 0"
	.size	.str.34, 17

	.type	.str.35,@object                 ; @.str.35
.str.35:
	.asciz	"cResult->nCubes > 0"
	.size	.str.35, 20

	.type	__PRETTY_FUNCTION__._ZN3sop10sopDivisorEPNS_3SopES1_iP7VecsMemIjLi8192EE,@object ; @__PRETTY_FUNCTION__._ZN3sop10sopDivisorEPNS_3SopES1_iP7VecsMemIjLi8192EE
__PRETTY_FUNCTION__._ZN3sop10sopDivisorEPNS_3SopES1_iP7VecsMemIjLi8192EE:
	.asciz	"int sop::sopDivisor(Sop *, Sop *, int, VecsMem<unsigned int, ISOP_FACTOR_MEM_CAP> *)"
	.size	__PRETTY_FUNCTION__._ZN3sop10sopDivisorEPNS_3SopES1_iP7VecsMemIjLi8192EE, 85

	.type	.str.36,@object                 ; @.str.36
.str.36:
	.asciz	"uCube"
	.size	.str.36, 6

	.type	__PRETTY_FUNCTION__._ZN3sop23sopFactorTrivialCubeRecEjiiPN8subgUtil4SubgILi256EEE,@object ; @__PRETTY_FUNCTION__._ZN3sop23sopFactorTrivialCubeRecEjiiPN8subgUtil4SubgILi256EEE
__PRETTY_FUNCTION__._ZN3sop23sopFactorTrivialCubeRecEjiiPN8subgUtil4SubgILi256EEE:
	.asciz	"int sop::sopFactorTrivialCubeRec(unsigned int, int, int, subgUtil::Subg<SUBG_CAP> *)"
	.size	__PRETTY_FUNCTION__._ZN3sop23sopFactorTrivialCubeRecEjiiPN8subgUtil4SubgILi256EEE, 85

	.type	.str.37,@object                 ; @.str.37
.str.37:
	.asciz	"iLit != -1"
	.size	.str.37, 11

	.type	.str.38,@object                 ; @.str.38
.str.38:
	.asciz	"cSop->nCubes >= cDiv->nCubes"
	.size	.str.38, 29

	.type	__PRETTY_FUNCTION__._ZN3sop17sopDivideInternalEPNS_3SopES1_S1_S1_P7VecsMemIjLi8192EE,@object ; @__PRETTY_FUNCTION__._ZN3sop17sopDivideInternalEPNS_3SopES1_S1_S1_P7VecsMemIjLi8192EE
__PRETTY_FUNCTION__._ZN3sop17sopDivideInternalEPNS_3SopES1_S1_S1_P7VecsMemIjLi8192EE:
	.asciz	"void sop::sopDivideInternal(Sop *, Sop *, Sop *, Sop *, VecsMem<unsigned int, ISOP_FACTOR_MEM_CAP> *)"
	.size	__PRETTY_FUNCTION__._ZN3sop17sopDivideInternalEPNS_3SopES1_S1_S1_P7VecsMemIjLi8192EE, 102

	.type	.str.39,@object                 ; @.str.39
.str.39:
	.asciz	"i2 < cSop->nCubes"
	.size	.str.39, 18

	.type	.str.40,@object                 ; @.str.40
.str.40:
	.asciz	"nCubesRem == vRem->nCubes"
	.size	.str.40, 26

	.type	.str.43,@object                 ; @.str.43
.str.43:
	.asciz	"nSize < nCap"
	.size	.str.43, 13

	.type	.str.44,@object                 ; @.str.44
.str.44:
	.asciz	"/root/src/amdgpu-assembly/repos/zjin-lcf__HeCBench/src/logic-rewrite-hip/sop.cuh"
	.size	.str.44, 81

	.type	__PRETTY_FUNCTION__._ZN8subgUtil4SubgILi256EE10addNodeAndEii,@object ; @__PRETTY_FUNCTION__._ZN8subgUtil4SubgILi256EE10addNodeAndEii
__PRETTY_FUNCTION__._ZN8subgUtil4SubgILi256EE10addNodeAndEii:
	.asciz	"int subgUtil::Subg<256>::addNodeAnd(int, int) [nCap = 256]"
	.size	__PRETTY_FUNCTION__._ZN8subgUtil4SubgILi256EE10addNodeAndEii, 59

	.type	__PRETTY_FUNCTION__._ZN8subgUtil4SubgILi256EE9addNodeOrEii,@object ; @__PRETTY_FUNCTION__._ZN8subgUtil4SubgILi256EE9addNodeOrEii
__PRETTY_FUNCTION__._ZN8subgUtil4SubgILi256EE9addNodeOrEii:
	.asciz	"int subgUtil::Subg<256>::addNodeOr(int, int) [nCap = 256]"
	.size	__PRETTY_FUNCTION__._ZN8subgUtil4SubgILi256EE9addNodeOrEii, 58

	.type	.str.45,@object                 ; @.str.45
.str.45:
	.asciz	"%d %d\n"
	.size	.str.45, 7

	.type	__PRETTY_FUNCTION__._ZN3sop18sopCommonCubeCoverEPNS_3SopES1_P7VecsMemIjLi8192EE,@object ; @__PRETTY_FUNCTION__._ZN3sop18sopCommonCubeCoverEPNS_3SopES1_P7VecsMemIjLi8192EE
__PRETTY_FUNCTION__._ZN3sop18sopCommonCubeCoverEPNS_3SopES1_P7VecsMemIjLi8192EE:
	.asciz	"void sop::sopCommonCubeCover(Sop *, Sop *, VecsMem<unsigned int, ISOP_FACTOR_MEM_CAP> *)"
	.size	__PRETTY_FUNCTION__._ZN3sop18sopCommonCubeCoverEPNS_3SopES1_P7VecsMemIjLi8192EE, 89

	.type	.str.46,@object                 ; @.str.46
.str.46:
	.asciz	"lit1 >= 0 && lit2 >= 0 && (fComp == 0 || fComp == 1) && lit1 <= lit2"
	.size	.str.46, 69

	.type	__PRETTY_FUNCTION__._ZN8subgUtil18formAndNodeKeyFlagEiii,@object ; @__PRETTY_FUNCTION__._ZN8subgUtil18formAndNodeKeyFlagEiii
__PRETTY_FUNCTION__._ZN8subgUtil18formAndNodeKeyFlagEiii:
	.asciz	"uint64 subgUtil::formAndNodeKeyFlag(const int, const int, const int)"
	.size	__PRETTY_FUNCTION__._ZN8subgUtil18formAndNodeKeyFlagEiii, 69

	.type	__hip_cuid_f52f5e1dbac4ad94,@object ; @__hip_cuid_f52f5e1dbac4ad94
	.section	.bss,"aw",@nobits
	.globl	__hip_cuid_f52f5e1dbac4ad94
__hip_cuid_f52f5e1dbac4ad94:
	.byte	0                               ; 0x0
	.size	__hip_cuid_f52f5e1dbac4ad94, 1

	.ident	"AMD clang version 22.0.0git (https://github.com/RadeonOpenCompute/llvm-project roc-7.2.4 26084 f58b06dce1f9c15707c5f808fd002e18c2accf7e)"
	.section	".note.GNU-stack","",@progbits
	.addrsig
	.addrsig_sym __hip_cuid_f52f5e1dbac4ad94
	.amdgpu_metadata
---
amdhsa.kernels:
  - .args:
      - .address_space:  global
        .offset:         0
        .size:           8
        .value_kind:     global_buffer
      - .address_space:  global
        .offset:         8
        .size:           8
        .value_kind:     global_buffer
      - .address_space:  global
        .offset:         16
        .size:           8
        .value_kind:     global_buffer
      - .address_space:  global
        .offset:         24
        .size:           8
        .value_kind:     global_buffer
      - .address_space:  global
        .offset:         32
        .size:           8
        .value_kind:     global_buffer
      - .address_space:  global
        .offset:         40
        .size:           8
        .value_kind:     global_buffer
      - .offset:         48
        .size:           4
        .value_kind:     by_value
      - .address_space:  global
        .offset:         56
        .size:           8
        .value_kind:     global_buffer
      - .address_space:  global
        .offset:         64
        .size:           8
        .value_kind:     global_buffer
      - .address_space:  global
        .offset:         72
        .size:           8
        .value_kind:     global_buffer
      - .address_space:  global
        .offset:         80
        .size:           8
        .value_kind:     global_buffer
      - .address_space:  global
        .offset:         88
        .size:           8
        .value_kind:     global_buffer
      - .address_space:  global
        .offset:         96
        .size:           8
        .value_kind:     global_buffer
      - .address_space:  global
        .offset:         104
        .size:           8
        .value_kind:     global_buffer
      - .address_space:  global
        .offset:         112
        .size:           8
        .value_kind:     global_buffer
      - .offset:         120
        .size:           4
        .value_kind:     by_value
      - .offset:         124
        .size:           4
        .value_kind:     by_value
      - .offset:         128
        .size:           4
        .value_kind:     hidden_block_count_x
      - .offset:         132
        .size:           4
        .value_kind:     hidden_block_count_y
      - .offset:         136
        .size:           4
        .value_kind:     hidden_block_count_z
      - .offset:         140
        .size:           2
        .value_kind:     hidden_group_size_x
      - .offset:         142
        .size:           2
        .value_kind:     hidden_group_size_y
      - .offset:         144
        .size:           2
        .value_kind:     hidden_group_size_z
      - .offset:         146
        .size:           2
        .value_kind:     hidden_remainder_x
      - .offset:         148
        .size:           2
        .value_kind:     hidden_remainder_y
      - .offset:         150
        .size:           2
        .value_kind:     hidden_remainder_z
      - .offset:         168
        .size:           8
        .value_kind:     hidden_global_offset_x
      - .offset:         176
        .size:           8
        .value_kind:     hidden_global_offset_y
      - .offset:         184
        .size:           8
        .value_kind:     hidden_global_offset_z
      - .offset:         192
        .size:           2
        .value_kind:     hidden_grid_dims
      - .offset:         208
        .size:           8
        .value_kind:     hidden_hostcall_buffer
    .group_segment_fixed_size: 0
    .kernarg_segment_align: 8
    .kernarg_segment_size: 384
    .language:       OpenCL C
    .language_version:
      - 2
      - 0
    .max_flat_workgroup_size: 1024
    .name:           _Z8resynCutPKiS0_S0_S0_PKyPKjiS0_PyPiS6_S6_PjS0_S4_ii
    .private_segment_fixed_size: 41392
    .sgpr_count:     107
    .sgpr_spill_count: 140
    .symbol:         _Z8resynCutPKiS0_S0_S0_PKyPKjiS0_PyPiS6_S6_PjS0_S4_ii.kd
    .uniform_work_group_size: 1
    .uses_dynamic_stack: true
    .vgpr_count:     95
    .vgpr_spill_count: 0
    .wavefront_size: 32
    .workgroup_processor_mode: 1
  - .args:
      - .address_space:  global
        .offset:         0
        .size:           8
        .value_kind:     global_buffer
      - .address_space:  global
        .offset:         8
        .size:           8
        .value_kind:     global_buffer
      - .address_space:  global
        .offset:         16
        .size:           8
        .value_kind:     global_buffer
      - .address_space:  global
        .offset:         24
        .size:           8
        .value_kind:     global_buffer
      - .address_space:  global
        .offset:         32
        .size:           8
        .value_kind:     global_buffer
      - .address_space:  global
        .offset:         40
        .size:           8
        .value_kind:     global_buffer
      - .address_space:  global
        .offset:         48
        .size:           8
        .value_kind:     global_buffer
      - .address_space:  global
        .offset:         56
        .size:           8
        .value_kind:     global_buffer
      - .address_space:  global
        .offset:         64
        .size:           8
        .value_kind:     global_buffer
      - .address_space:  global
        .offset:         72
        .size:           8
        .value_kind:     global_buffer
      - .offset:         80
        .size:           4
        .value_kind:     by_value
      - .offset:         88
        .size:           4
        .value_kind:     hidden_block_count_x
      - .offset:         92
        .size:           4
        .value_kind:     hidden_block_count_y
      - .offset:         96
        .size:           4
        .value_kind:     hidden_block_count_z
      - .offset:         100
        .size:           2
        .value_kind:     hidden_group_size_x
      - .offset:         102
        .size:           2
        .value_kind:     hidden_group_size_y
      - .offset:         104
        .size:           2
        .value_kind:     hidden_group_size_z
      - .offset:         106
        .size:           2
        .value_kind:     hidden_remainder_x
      - .offset:         108
        .size:           2
        .value_kind:     hidden_remainder_y
      - .offset:         110
        .size:           2
        .value_kind:     hidden_remainder_z
      - .offset:         128
        .size:           8
        .value_kind:     hidden_global_offset_x
      - .offset:         136
        .size:           8
        .value_kind:     hidden_global_offset_y
      - .offset:         144
        .size:           8
        .value_kind:     hidden_global_offset_z
      - .offset:         152
        .size:           2
        .value_kind:     hidden_grid_dims
      - .offset:         168
        .size:           8
        .value_kind:     hidden_hostcall_buffer
    .group_segment_fixed_size: 0
    .kernarg_segment_align: 8
    .kernarg_segment_size: 344
    .language:       OpenCL C
    .language_version:
      - 2
      - 0
    .max_flat_workgroup_size: 1024
    .name:           _Z15factorFromTruthPKiS0_PyPiS2_S2_PKjS4_S0_S4_i
    .private_segment_fixed_size: 35200
    .sgpr_count:     107
    .sgpr_spill_count: 23
    .symbol:         _Z15factorFromTruthPKiS0_PyPiS2_S2_PKjS4_S0_S4_i.kd
    .uniform_work_group_size: 1
    .uses_dynamic_stack: true
    .vgpr_count:     83
    .vgpr_spill_count: 0
    .wavefront_size: 32
    .workgroup_processor_mode: 1
amdhsa.target:   amdgcn-amd-amdhsa--gfx1201
amdhsa.version:
  - 1
  - 2
...

	.end_amdgpu_metadata
